;; amdgpu-corpus repo=ROCm/rocFFT kind=compiled arch=gfx1201 opt=O3
	.text
	.amdgcn_target "amdgcn-amd-amdhsa--gfx1201"
	.amdhsa_code_object_version 6
	.protected	bluestein_single_fwd_len10000_dim1_half_op_CI_CI ; -- Begin function bluestein_single_fwd_len10000_dim1_half_op_CI_CI
	.globl	bluestein_single_fwd_len10000_dim1_half_op_CI_CI
	.p2align	8
	.type	bluestein_single_fwd_len10000_dim1_half_op_CI_CI,@function
bluestein_single_fwd_len10000_dim1_half_op_CI_CI: ; @bluestein_single_fwd_len10000_dim1_half_op_CI_CI
; %bb.0:
	s_load_b128 s[12:15], s[0:1], 0x28
	v_mul_u32_u24_e32 v1, 0x20d, v0
	s_mov_b32 s2, exec_lo
	v_mov_b32_e32 v53, 0
	s_delay_alu instid0(VALU_DEP_2) | instskip(NEXT) | instid1(VALU_DEP_1)
	v_lshrrev_b32_e32 v1, 18, v1
	v_add_nc_u32_e32 v52, ttmp9, v1
	s_wait_kmcnt 0x0
	s_delay_alu instid0(VALU_DEP_1)
	v_cmpx_gt_u64_e64 s[12:13], v[52:53]
	s_cbranch_execz .LBB0_2
; %bb.1:
	s_clause 0x1
	s_load_b128 s[4:7], s[0:1], 0x18
	s_load_b128 s[8:11], s[0:1], 0x0
	v_mul_lo_u16 v1, 0x1f4, v1
	s_movk_i32 s12, 0x92a0
	s_mov_b32 s13, -1
	s_delay_alu instid0(VALU_DEP_1) | instskip(NEXT) | instid1(VALU_DEP_1)
	v_sub_nc_u16 v20, v0, v1
	v_and_b32_e32 v84, 0xffff, v20
	s_wait_kmcnt 0x0
	s_load_b128 s[16:19], s[4:5], 0x0
	s_wait_kmcnt 0x0
	v_mad_co_u64_u32 v[0:1], null, s18, v52, 0
	v_mad_co_u64_u32 v[2:3], null, s16, v84, 0
	s_mul_u64 s[2:3], s[16:17], 0x2710
	s_mul_u64 s[4:5], s[16:17], s[12:13]
	s_delay_alu instid0(VALU_DEP_1) | instskip(NEXT) | instid1(VALU_DEP_1)
	v_mad_co_u64_u32 v[4:5], null, s19, v52, v[1:2]
	v_mov_b32_e32 v1, v4
	s_delay_alu instid0(VALU_DEP_3) | instskip(SKIP_2) | instid1(VALU_DEP_4)
	v_mad_co_u64_u32 v[5:6], null, s17, v84, v[3:4]
	v_lshlrev_b32_e32 v82, 2, v84
	v_add_co_u32 v21, null, 0x1f4, v84
	v_lshlrev_b64_e32 v[0:1], 2, v[0:1]
	v_add_co_u32 v4, null, 0x3e8, v84
	v_mov_b32_e32 v3, v5
	s_clause 0x4
	global_load_b32 v71, v82, s[8:9] offset:14000
	global_load_b32 v91, v82, s[8:9]
	global_load_b32 v83, v82, s[8:9] offset:2000
	global_load_b32 v74, v82, s[8:9] offset:4000
	;; [unrolled: 1-line block ×3, first 2 shown]
	v_add_co_u32 v0, vcc_lo, s14, v0
	v_lshlrev_b64_e32 v[2:3], 2, v[2:3]
	v_add_co_ci_u32_e32 v1, vcc_lo, s15, v1, vcc_lo
	s_clause 0xa
	global_load_b32 v64, v82, s[8:9] offset:16000
	global_load_b32 v70, v82, s[8:9] offset:24000
	;; [unrolled: 1-line block ×11, first 2 shown]
	v_add_co_u32 v0, vcc_lo, v0, v2
	s_wait_alu 0xfffd
	v_add_co_ci_u32_e32 v1, vcc_lo, v1, v3, vcc_lo
	s_clause 0x3
	global_load_b32 v77, v82, s[8:9] offset:32000
	global_load_b32 v69, v82, s[8:9] offset:34000
	;; [unrolled: 1-line block ×4, first 2 shown]
	v_add_co_u32 v5, null, 0x5dc, v84
	global_load_b32 v6, v[0:1], off
	v_add_co_u32 v0, vcc_lo, v0, s2
	s_wait_alu 0xfffd
	v_add_co_ci_u32_e32 v1, vcc_lo, s3, v1, vcc_lo
	v_lshlrev_b32_e32 v98, 4, v21
	s_delay_alu instid0(VALU_DEP_3) | instskip(SKIP_1) | instid1(VALU_DEP_3)
	v_add_co_u32 v2, vcc_lo, v0, s2
	s_wait_alu 0xfffd
	v_add_co_ci_u32_e32 v3, vcc_lo, s3, v1, vcc_lo
	global_load_b32 v7, v[0:1], off
	v_lshlrev_b32_e32 v99, 4, v4
	v_lshlrev_b32_e32 v100, 4, v5
	global_load_b32 v8, v[2:3], off
	v_add_co_u32 v0, vcc_lo, v2, s2
	s_wait_alu 0xfffd
	v_add_co_ci_u32_e32 v1, vcc_lo, s3, v3, vcc_lo
	v_lshlrev_b32_e32 v95, 4, v84
	s_delay_alu instid0(VALU_DEP_3) | instskip(SKIP_1) | instid1(VALU_DEP_3)
	v_add_co_u32 v2, vcc_lo, v0, s4
	s_wait_alu 0xfffd
	v_add_co_ci_u32_e32 v3, vcc_lo, s5, v1, vcc_lo
	s_clause 0x1
	global_load_b32 v9, v[0:1], off
	global_load_b32 v10, v[2:3], off
	v_add_co_u32 v0, vcc_lo, v2, s2
	s_wait_alu 0xfffd
	v_add_co_ci_u32_e32 v1, vcc_lo, s3, v3, vcc_lo
	s_delay_alu instid0(VALU_DEP_2) | instskip(SKIP_1) | instid1(VALU_DEP_2)
	v_add_co_u32 v2, vcc_lo, v0, s2
	s_wait_alu 0xfffd
	v_add_co_ci_u32_e32 v3, vcc_lo, s3, v1, vcc_lo
	global_load_b32 v11, v[0:1], off
	v_add_co_u32 v0, vcc_lo, v2, s2
	s_wait_alu 0xfffd
	v_add_co_ci_u32_e32 v1, vcc_lo, s3, v3, vcc_lo
	global_load_b32 v12, v[2:3], off
	v_add_co_u32 v2, vcc_lo, v0, s4
	s_wait_alu 0xfffd
	v_add_co_ci_u32_e32 v3, vcc_lo, s5, v1, vcc_lo
	global_load_b32 v13, v[0:1], off
	global_load_b32 v14, v[2:3], off
	v_add_co_u32 v0, vcc_lo, v2, s2
	s_wait_alu 0xfffd
	v_add_co_ci_u32_e32 v1, vcc_lo, s3, v3, vcc_lo
	s_delay_alu instid0(VALU_DEP_2) | instskip(SKIP_1) | instid1(VALU_DEP_2)
	v_add_co_u32 v2, vcc_lo, v0, s2
	s_wait_alu 0xfffd
	v_add_co_ci_u32_e32 v3, vcc_lo, s3, v1, vcc_lo
	global_load_b32 v15, v[0:1], off
	v_add_co_u32 v0, vcc_lo, v2, s2
	s_wait_alu 0xfffd
	v_add_co_ci_u32_e32 v1, vcc_lo, s3, v3, vcc_lo
	global_load_b32 v16, v[2:3], off
	v_add_co_u32 v2, vcc_lo, v0, s4
	s_wait_alu 0xfffd
	v_add_co_ci_u32_e32 v3, vcc_lo, s5, v1, vcc_lo
	;; [unrolled: 17-line block ×3, first 2 shown]
	global_load_b32 v23, v[0:1], off
	global_load_b32 v24, v[2:3], off
	v_add_co_u32 v0, vcc_lo, v2, s2
	s_wait_alu 0xfffd
	v_add_co_ci_u32_e32 v1, vcc_lo, s3, v3, vcc_lo
	s_delay_alu instid0(VALU_DEP_2) | instskip(SKIP_1) | instid1(VALU_DEP_2)
	v_add_co_u32 v2, vcc_lo, v0, s2
	s_wait_alu 0xfffd
	v_add_co_ci_u32_e32 v3, vcc_lo, s3, v1, vcc_lo
	global_load_b32 v25, v[0:1], off
	v_add_co_u32 v0, vcc_lo, v2, s2
	s_wait_alu 0xfffd
	v_add_co_ci_u32_e32 v1, vcc_lo, s3, v3, vcc_lo
	global_load_b32 v2, v[2:3], off
	global_load_b32 v0, v[0:1], off
	s_load_b128 s[4:7], s[6:7], 0x0
	v_lshlrev_b16 v1, 2, v20
	s_delay_alu instid0(VALU_DEP_1) | instskip(NEXT) | instid1(VALU_DEP_1)
	v_and_b32_e32 v1, 0xffff, v1
	v_lshlrev_b32_e32 v97, 2, v1
	s_wait_loadcnt 0x26
	v_lshrrev_b32_e32 v94, 16, v91
	s_wait_loadcnt 0x25
	v_lshrrev_b32_e32 v87, 16, v83
	;; [unrolled: 2-line block ×3, first 2 shown]
	v_lshrrev_b32_e32 v75, 16, v71
	s_wait_loadcnt 0x23
	v_lshrrev_b32_e32 v68, 16, v66
	s_wait_loadcnt 0x1f
	;; [unrolled: 2-line block ×3, first 2 shown]
	v_lshrrev_b32_e32 v93, 16, v90
	v_lshrrev_b32_e32 v73, 16, v70
	s_wait_loadcnt 0x1c
	v_lshrrev_b32_e32 v88, 16, v86
	s_wait_loadcnt 0x19
	v_lshrrev_b32_e32 v92, 16, v89
	v_lshrrev_b32_e32 v81, 16, v78
	;; [unrolled: 1-line block ×3, first 2 shown]
	s_wait_loadcnt 0x17
	v_lshrrev_b32_e32 v79, 16, v77
	s_wait_loadcnt 0x16
	v_lshrrev_b32_e32 v72, 16, v69
	v_lshrrev_b32_e32 v65, 16, v62
	s_wait_loadcnt 0x15
	v_lshrrev_b32_e32 v63, 16, v61
	v_lshrrev_b32_e32 v60, 16, v58
	;; [unrolled: 1-line block ×3, first 2 shown]
	s_wait_loadcnt 0x13
	v_lshrrev_b32_e32 v3, 16, v6
	v_mul_f16_e32 v26, v94, v6
	v_lshrrev_b32_e32 v56, 16, v54
	v_lshrrev_b32_e32 v55, 16, v53
	s_delay_alu instid0(VALU_DEP_4) | instskip(NEXT) | instid1(VALU_DEP_4)
	v_mul_f16_e32 v27, v94, v3
	v_fma_f16 v3, v91, v3, -v26
	s_wait_loadcnt 0x12
	v_lshrrev_b32_e32 v28, 16, v7
	v_mul_f16_e32 v29, v93, v7
	v_fmac_f16_e32 v27, v91, v6
	s_wait_loadcnt 0x11
	v_lshrrev_b32_e32 v26, 16, v8
	v_mul_f16_e32 v6, v93, v28
	v_fma_f16 v28, v90, v28, -v29
	v_mul_f16_e32 v29, v92, v8
	v_pack_b32_f16 v3, v27, v3
	s_delay_alu instid0(VALU_DEP_4) | instskip(SKIP_1) | instid1(VALU_DEP_4)
	v_fmac_f16_e32 v6, v90, v7
	v_mul_f16_e32 v7, v92, v26
	v_fma_f16 v26, v89, v26, -v29
	s_wait_loadcnt 0x10
	v_lshrrev_b32_e32 v27, 16, v9
	v_mul_f16_e32 v29, v88, v9
	v_pack_b32_f16 v6, v6, v28
	v_fmac_f16_e32 v7, v89, v8
	s_wait_loadcnt 0xf
	v_lshrrev_b32_e32 v28, 16, v10
	v_mul_f16_e32 v8, v88, v27
	v_fma_f16 v27, v86, v27, -v29
	v_mul_f16_e32 v29, v87, v10
	v_pack_b32_f16 v7, v7, v26
	s_delay_alu instid0(VALU_DEP_4)
	v_fmac_f16_e32 v8, v86, v9
	v_mul_f16_e32 v9, v87, v28
	s_wait_loadcnt 0xe
	v_lshrrev_b32_e32 v26, 16, v11
	v_fma_f16 v28, v83, v28, -v29
	v_mul_f16_e32 v29, v85, v11
	v_pack_b32_f16 v8, v8, v27
	v_fmac_f16_e32 v9, v83, v10
	v_mul_f16_e32 v10, v85, v26
	s_wait_loadcnt 0xd
	v_lshrrev_b32_e32 v27, 16, v12
	v_fma_f16 v26, v80, v26, -v29
	v_mul_f16_e32 v29, v81, v12
	v_pack_b32_f16 v9, v9, v28
	;; [unrolled: 7-line block ×13, first 2 shown]
	v_fmac_f16_e32 v23, v58, v24
	s_wait_loadcnt 0x1
	v_lshrrev_b32_e32 v24, 16, v2
	v_mul_f16_e32 v27, v59, v26
	v_fma_f16 v26, v57, v26, -v29
	s_wait_loadcnt 0x0
	v_lshrrev_b32_e32 v29, 16, v0
	v_mul_f16_e32 v30, v56, v2
	v_mul_f16_e32 v31, v56, v24
	;; [unrolled: 1-line block ×3, first 2 shown]
	ds_store_b32 v82, v11 offset:22000
	ds_store_b32 v82, v15 offset:24000
	v_mul_f16_e32 v11, v55, v29
	v_fmac_f16_e32 v27, v57, v25
	v_fma_f16 v24, v54, v24, -v30
	v_fmac_f16_e32 v31, v54, v2
	ds_store_b32 v82, v6 offset:10000
	ds_store_b32 v82, v10 offset:12000
	;; [unrolled: 1-line block ×4, first 2 shown]
	v_fma_f16 v6, v53, v29, -v32
	v_fmac_f16_e32 v11, v53, v0
	v_pack_b32_f16 v2, v27, v26
	v_pack_b32_f16 v23, v23, v28
	ds_store_b32 v82, v12 offset:32000
	v_pack_b32_f16 v0, v31, v24
	ds_store_b32 v82, v19 offset:26000
	ds_store_b32 v82, v7 offset:20000
	;; [unrolled: 1-line block ×3, first 2 shown]
	v_pack_b32_f16 v2, v11, v6
	ds_store_b32 v82, v16 offset:34000
	ds_store_b32 v82, v22 offset:36000
	;; [unrolled: 1-line block ×8, first 2 shown]
	ds_store_b32 v82, v3
	ds_store_b32 v82, v2 offset:38000
	global_wb scope:SCOPE_SE
	s_wait_dscnt 0x0
	s_wait_kmcnt 0x0
	s_barrier_signal -1
	s_barrier_wait -1
	global_inv scope:SCOPE_SE
	ds_load_b32 v0, v82 offset:32000
	ds_load_b32 v2, v82 offset:22000
	;; [unrolled: 1-line block ×16, first 2 shown]
	ds_load_b32 v22, v82
	ds_load_b32 v23, v82 offset:20000
	ds_load_b32 v24, v82 offset:10000
	;; [unrolled: 1-line block ×3, first 2 shown]
	v_and_b32_e32 v6, 3, v84
	global_wb scope:SCOPE_SE
	s_wait_dscnt 0x0
	s_barrier_signal -1
	v_pk_add_f16 v1, v7, v2 neg_lo:[0,1] neg_hi:[0,1]
	v_pk_add_f16 v3, v8, v3 neg_lo:[0,1] neg_hi:[0,1]
	v_lshlrev_b32_e32 v26, 4, v6
	s_barrier_wait -1
	v_pk_add_f16 v0, v11, v0 neg_lo:[0,1] neg_hi:[0,1]
	v_lshrrev_b32_e32 v27, 16, v1
	v_pk_fma_f16 v8, v8, 2.0, v3 op_sel_hi:[1,0,1] neg_lo:[0,0,1] neg_hi:[0,0,1]
	v_lshrrev_b32_e32 v29, 16, v3
	v_pk_add_f16 v15, v9, v15 neg_lo:[0,1] neg_hi:[0,1]
	v_pk_add_f16 v16, v10, v16 neg_lo:[0,1] neg_hi:[0,1]
	;; [unrolled: 1-line block ×5, first 2 shown]
	v_pk_fma_f16 v2, v11, 2.0, v0 op_sel_hi:[1,0,1] neg_lo:[0,0,1] neg_hi:[0,0,1]
	v_pk_add_f16 v23, v22, v23 neg_lo:[0,1] neg_hi:[0,1]
	v_pk_fma_f16 v12, v12, 2.0, v17 op_sel_hi:[1,0,1] neg_lo:[0,0,1] neg_hi:[0,0,1]
	v_pk_add_f16 v25, v24, v25 neg_lo:[0,1] neg_hi:[0,1]
	v_lshrrev_b32_e32 v28, 16, v17
	v_pk_fma_f16 v10, v10, 2.0, v16 op_sel_hi:[1,0,1] neg_lo:[0,0,1] neg_hi:[0,0,1]
	v_pk_fma_f16 v14, v14, 2.0, v19 op_sel_hi:[1,0,1] neg_lo:[0,0,1] neg_hi:[0,0,1]
	v_lshrrev_b32_e32 v36, 16, v23
	v_lshrrev_b32_e32 v35, 16, v25
	;; [unrolled: 1-line block ×3, first 2 shown]
	v_pk_fma_f16 v7, v7, 2.0, v1 op_sel_hi:[1,0,1] neg_lo:[0,0,1] neg_hi:[0,0,1]
	v_pk_fma_f16 v30, v9, 2.0, v15 op_sel_hi:[1,0,1] neg_lo:[0,0,1] neg_hi:[0,0,1]
	;; [unrolled: 1-line block ×3, first 2 shown]
	v_lshrrev_b32_e32 v31, 16, v18
	v_lshrrev_b32_e32 v32, 16, v15
	;; [unrolled: 1-line block ×4, first 2 shown]
	v_pk_fma_f16 v22, v22, 2.0, v23 op_sel_hi:[1,0,1] neg_lo:[0,0,1] neg_hi:[0,0,1]
	v_pk_fma_f16 v24, v24, 2.0, v25 op_sel_hi:[1,0,1] neg_lo:[0,0,1] neg_hi:[0,0,1]
	v_pk_add_f16 v9, v8, v12 neg_lo:[0,1] neg_hi:[0,1]
	v_sub_f16_e32 v12, v3, v28
	v_add_f16_e32 v28, v29, v17
	v_pk_add_f16 v17, v10, v14 neg_lo:[0,1] neg_hi:[0,1]
	v_sub_f16_e32 v14, v23, v35
	v_add_f16_e32 v25, v36, v25
	v_sub_f16_e32 v37, v1, v11
	v_add_f16_e32 v38, v27, v0
	v_pk_add_f16 v2, v7, v2 neg_lo:[0,1] neg_hi:[0,1]
	v_pk_add_f16 v13, v30, v13 neg_lo:[0,1] neg_hi:[0,1]
	v_sub_f16_e32 v31, v15, v31
	v_add_f16_e32 v18, v32, v18
	v_sub_f16_e32 v33, v16, v33
	v_add_f16_e32 v19, v34, v19
	v_pk_add_f16 v24, v22, v24 neg_lo:[0,1] neg_hi:[0,1]
	v_fma_f16 v23, v23, 2.0, -v14
	v_fma_f16 v35, v36, 2.0, -v25
	;; [unrolled: 1-line block ×4, first 2 shown]
	v_pk_fma_f16 v0, v7, 2.0, v2 op_sel_hi:[1,0,1] neg_lo:[0,0,1] neg_hi:[0,0,1]
	v_pk_fma_f16 v7, v8, 2.0, v9 op_sel_hi:[1,0,1] neg_lo:[0,0,1] neg_hi:[0,0,1]
	v_fma_f16 v8, v3, 2.0, -v12
	v_fma_f16 v29, v29, 2.0, -v28
	v_pk_fma_f16 v11, v30, 2.0, v13 op_sel_hi:[1,0,1] neg_lo:[0,0,1] neg_hi:[0,0,1]
	v_fma_f16 v30, v15, 2.0, -v31
	v_fma_f16 v32, v32, 2.0, -v18
	;; [unrolled: 1-line block ×4, first 2 shown]
	v_pk_fma_f16 v22, v22, 2.0, v24 op_sel_hi:[1,0,1] neg_lo:[0,0,1] neg_hi:[0,0,1]
	v_pack_b32_f16 v25, v14, v25
	v_pack_b32_f16 v23, v23, v35
	;; [unrolled: 1-line block ×4, first 2 shown]
	v_pk_fma_f16 v15, v10, 2.0, v17 op_sel_hi:[1,0,1] neg_lo:[0,0,1] neg_hi:[0,0,1]
	v_pack_b32_f16 v10, v12, v28
	v_pack_b32_f16 v8, v8, v29
	;; [unrolled: 1-line block ×6, first 2 shown]
	global_inv scope:SCOPE_SE
	ds_store_b128 v97, v[22:25]
	ds_store_b128 v98, v[0:3]
	;; [unrolled: 1-line block ×4, first 2 shown]
	ds_store_b128 v95, v[15:18] offset:32000
	global_wb scope:SCOPE_SE
	s_wait_dscnt 0x0
	s_barrier_signal -1
	s_barrier_wait -1
	global_inv scope:SCOPE_SE
	global_load_b128 v[0:3], v26, s[10:11]
	v_mul_u32_u24_e32 v8, 0xcccd, v84
	v_and_b32_e32 v12, 0xffff, v4
	v_lshrrev_b32_e32 v7, 2, v84
	v_and_b32_e32 v13, 0xffff, v5
	v_lshrrev_b32_e32 v9, 2, v21
	v_lshrrev_b32_e32 v22, 20, v8
	v_and_b32_e32 v8, 0xffff, v21
	v_lshrrev_b32_e32 v10, 2, v4
	v_lshrrev_b32_e32 v11, 2, v5
	v_mul_u32_u24_e32 v12, 0xcccd, v12
	v_mul_u32_u24_e32 v7, 20, v7
	;; [unrolled: 1-line block ×3, first 2 shown]
	v_mul_lo_u16 v14, v22, 20
	v_mul_u32_u24_e32 v13, 0xcccd, v13
	v_mul_u32_u24_e32 v9, 20, v9
	;; [unrolled: 1-line block ×3, first 2 shown]
	v_lshrrev_b32_e32 v23, 20, v8
	v_mul_u32_u24_e32 v11, 20, v11
	v_lshrrev_b32_e32 v24, 20, v12
	v_or_b32_e32 v7, v7, v6
	v_sub_nc_u16 v26, v20, v14
	v_mul_lo_u16 v8, v23, 20
	v_lshrrev_b32_e32 v25, 20, v13
	v_or_b32_e32 v9, v9, v6
	v_or_b32_e32 v10, v10, v6
	;; [unrolled: 1-line block ×3, first 2 shown]
	v_mul_lo_u16 v11, v24, 20
	v_sub_nc_u16 v27, v21, v8
	v_lshlrev_b32_e32 v102, 2, v7
	v_lshlrev_b16 v7, 4, v26
	v_mul_lo_u16 v12, v25, 20
	v_sub_nc_u16 v30, v4, v11
	v_lshlrev_b16 v4, 4, v27
	v_lshlrev_b32_e32 v108, 2, v6
	v_lshlrev_b32_e32 v101, 2, v9
	v_sub_nc_u16 v31, v5, v12
	v_and_b32_e32 v5, 0xffff, v7
	v_lshlrev_b16 v6, 4, v30
	v_and_b32_e32 v8, 0xffff, v4
	v_lshlrev_b32_e32 v96, 2, v10
	v_lshlrev_b16 v7, 4, v31
	v_add_co_u32 v4, s2, s10, v5
	s_wait_alu 0xf1ff
	v_add_co_ci_u32_e64 v5, null, s11, 0, s2
	v_and_b32_e32 v9, 0xffff, v6
	v_add_co_u32 v6, s2, s10, v8
	ds_load_b32 v8, v82 offset:8000
	ds_load_b32 v11, v82 offset:16000
	ds_load_b32 v12, v82 offset:24000
	ds_load_b32 v13, v82 offset:32000
	ds_load_b32 v14, v82
	ds_load_b32 v15, v82 offset:2000
	ds_load_b32 v16, v82 offset:10000
	;; [unrolled: 1-line block ×15, first 2 shown]
	s_wait_dscnt 0x13
	v_lshrrev_b32_e32 v41, 16, v8
	s_wait_dscnt 0x12
	v_lshrrev_b32_e32 v42, 16, v11
	;; [unrolled: 2-line block ×20, first 2 shown]
	v_and_b32_e32 v10, 0xffff, v7
	s_wait_alu 0xf1ff
	v_add_co_ci_u32_e64 v7, null, s11, 0, s2
	global_wb scope:SCOPE_SE
	s_wait_loadcnt 0x0
	s_barrier_signal -1
	s_barrier_wait -1
	global_inv scope:SCOPE_SE
	v_mad_u16 v22, 0x64, v22, v26
	v_mad_u16 v25, 0x64, v25, v31
	s_delay_alu instid0(VALU_DEP_1) | instskip(SKIP_4) | instid1(VALU_DEP_4)
	v_and_b32_e32 v25, 0xffff, v25
	v_lshrrev_b32_e32 v119, 16, v0
	v_lshrrev_b32_e32 v118, 16, v1
	;; [unrolled: 1-line block ×4, first 2 shown]
	v_mul_f16_e32 v112, v41, v119
	v_mul_f16_e32 v113, v8, v119
	;; [unrolled: 1-line block ×7, first 2 shown]
	v_mul_f16_e64 v132, v50, v119
	v_mul_f16_e64 v133, v17, v119
	v_mul_f16_e32 v123, v13, v116
	v_mul_f16_e32 v124, v46, v119
	;; [unrolled: 1-line block ×3, first 2 shown]
	v_mul_f16_e64 v140, v105, v119
	v_mul_f16_e64 v141, v35, v119
	v_mul_f16_e32 v126, v47, v118
	v_mul_f16_e32 v127, v18, v118
	v_mul_f16_e64 v128, v48, v117
	v_mul_f16_e64 v129, v28, v117
	;; [unrolled: 1-line block ×16, first 2 shown]
	v_fma_f16 v8, v8, v0, -v112
	v_fmac_f16_e32 v113, v41, v0
	v_fma_f16 v11, v11, v1, -v114
	v_fmac_f16_e32 v115, v42, v1
	;; [unrolled: 2-line block ×3, first 2 shown]
	v_fma_f16 v13, v13, v3, -v122
	v_fma_f16 v17, v17, v0, -v132
	v_fmac_f16_e64 v133, v50, v0
	v_fmac_f16_e32 v123, v44, v3
	v_fma_f16 v16, v16, v0, -v124
	v_fmac_f16_e32 v125, v46, v0
	v_fma_f16 v35, v35, v0, -v140
	v_fmac_f16_e64 v141, v105, v0
	v_fma_f16 v18, v18, v1, -v126
	v_fmac_f16_e32 v127, v47, v1
	v_fma_f16 v28, v28, v2, -v128
	v_fmac_f16_e64 v129, v48, v2
	v_fma_f16 v32, v32, v3, -v130
	v_fmac_f16_e64 v131, v49, v3
	;; [unrolled: 2-line block ×8, first 2 shown]
	v_add_f16_e32 v41, v14, v8
	v_add_f16_e32 v42, v11, v12
	v_sub_f16_e32 v43, v8, v11
	v_sub_f16_e32 v44, v13, v12
	;; [unrolled: 1-line block ×4, first 2 shown]
	v_add_f16_e32 v49, v40, v113
	v_add_f16_e32 v50, v115, v121
	v_add_f16_e64 v148, v36, v17
	v_add_f16_e64 v155, v110, v133
	v_add_f16_e32 v46, v8, v13
	v_add_f16_e32 v104, v113, v123
	;; [unrolled: 1-line block ×3, first 2 shown]
	v_add_f16_e64 v134, v45, v125
	v_add_f16_e64 v162, v38, v35
	;; [unrolled: 1-line block ×3, first 2 shown]
	v_sub_f16_e32 v51, v113, v115
	v_sub_f16_e32 v103, v123, v121
	;; [unrolled: 1-line block ×4, first 2 shown]
	v_add_f16_e32 v107, v18, v28
	v_add_f16_e64 v130, v127, v129
	v_add_f16_e32 v114, v16, v32
	v_add_f16_e64 v132, v125, v131
	v_sub_f16_e32 v109, v16, v18
	v_sub_f16_e32 v112, v32, v28
	;; [unrolled: 1-line block ×5, first 2 shown]
	v_sub_f16_e64 v128, v131, v129
	v_sub_f16_e64 v136, v127, v125
	;; [unrolled: 1-line block ×4, first 2 shown]
	v_add_f16_e64 v144, v19, v29
	v_add_f16_e64 v146, v17, v33
	v_sub_f16_e64 v149, v19, v17
	v_add_f16_e64 v153, v135, v137
	v_add_f16_e64 v154, v133, v139
	;; [unrolled: 1-line block ×6, first 2 shown]
	v_sub_f16_e64 v172, v11, v12
	v_sub_f16_e64 v173, v115, v121
	;; [unrolled: 1-line block ×3, first 2 shown]
	v_sub_f16_e32 v8, v8, v13
	v_sub_f16_e32 v113, v113, v123
	v_add_f16_e32 v43, v43, v44
	v_fma_f16 v42, -0.5, v42, v14
	v_add_f16_e32 v44, v47, v48
	v_fma_f16 v47, -0.5, v50, v40
	v_add_f16_e32 v11, v41, v11
	v_add_f16_e32 v41, v49, v115
	v_add_f16_e64 v19, v148, v19
	v_add_f16_e64 v115, v155, v135
	v_sub_f16_e64 v158, v35, v34
	v_sub_f16_e64 v163, v34, v35
	;; [unrolled: 1-line block ×4, first 2 shown]
	v_fmac_f16_e32 v14, -0.5, v46
	v_fmac_f16_e32 v40, -0.5, v104
	v_add_f16_e32 v18, v120, v18
	v_add_f16_e64 v49, v134, v127
	v_add_f16_e64 v34, v162, v34
	;; [unrolled: 1-line block ×3, first 2 shown]
	v_sub_f16_e32 v16, v16, v32
	v_sub_f16_e64 v125, v125, v131
	v_add_f16_e32 v46, v51, v103
	v_add_f16_e32 v48, v105, v106
	v_fma_f16 v51, -0.5, v107, v15
	v_fma_f16 v105, -0.5, v130, v45
	v_sub_f16_e64 v175, v127, v129
	v_fmac_f16_e32 v15, -0.5, v114
	v_fmac_f16_e64 v45, -0.5, v132
	v_sub_f16_e64 v142, v33, v29
	v_sub_f16_e64 v150, v29, v33
	v_sub_f16_e64 v151, v133, v135
	v_sub_f16_e64 v156, v135, v133
	v_sub_f16_e64 v165, v141, v143
	v_sub_f16_e64 v170, v143, v141
	v_sub_f16_e64 v177, v135, v137
	v_sub_f16_e64 v179, v143, v145
	v_sub_f16_e32 v17, v17, v33
	v_sub_f16_e64 v133, v133, v139
	v_sub_f16_e32 v35, v35, v39
	v_sub_f16_e64 v141, v141, v147
	v_add_f16_e32 v50, v109, v112
	v_add_f16_e32 v103, v122, v124
	v_add_f16_e64 v104, v126, v128
	v_add_f16_e64 v106, v136, v138
	v_fma_f16 v109, -0.5, v144, v36
	v_fmac_f16_e64 v36, -0.5, v146
	v_fma_f16 v122, -0.5, v153, v110
	v_fmac_f16_e64 v110, -0.5, v154
	;; [unrolled: 2-line block ×4, first 2 shown]
	v_add_f16_e32 v11, v11, v12
	v_add_f16_e32 v12, v41, v121
	;; [unrolled: 1-line block ×3, first 2 shown]
	v_add_f16_e64 v29, v115, v137
	v_fmamk_f16 v41, v113, 0x3b9c, v42
	v_fmamk_f16 v115, v8, 0xbb9c, v47
	v_sub_f16_e64 v159, v39, v37
	v_sub_f16_e64 v164, v37, v39
	v_add_f16_e32 v18, v18, v28
	v_add_f16_e64 v28, v49, v129
	v_add_f16_e32 v34, v34, v37
	v_add_f16_e64 v37, v120, v145
	v_fma_f16 v49, 0xbb9c, v173, v14
	v_fmac_f16_e64 v14, 0x3b9c, v173
	v_fma_f16 v120, 0x3b9c, v172, v40
	v_fmac_f16_e64 v40, 0xbb9c, v172
	v_fmac_f16_e32 v42, 0xbb9c, v113
	v_fmac_f16_e32 v47, 0x3b9c, v8
	v_fmamk_f16 v121, v125, 0x3b9c, v51
	v_fma_f16 v129, 0xbb9c, v16, v105
	v_fma_f16 v127, 0xbb9c, v175, v15
	v_fmac_f16_e64 v15, 0x3b9c, v175
	v_fma_f16 v134, 0x3b9c, v174, v45
	v_fmac_f16_e64 v45, 0xbb9c, v174
	v_sub_f16_e64 v152, v139, v137
	v_sub_f16_e64 v157, v137, v139
	;; [unrolled: 1-line block ×4, first 2 shown]
	v_add_f16_e64 v107, v140, v142
	v_fmac_f16_e32 v51, 0xbb9c, v125
	v_fmac_f16_e32 v105, 0x3b9c, v16
	v_fma_f16 v135, 0x3b9c, v133, v109
	v_fmac_f16_e64 v109, 0xbb9c, v133
	v_fma_f16 v137, 0xbb9c, v177, v36
	v_fmac_f16_e64 v36, 0x3b9c, v177
	v_fma_f16 v140, 0xbb9c, v17, v122
	v_fmac_f16_e32 v122, 0x3b9c, v17
	v_fma_f16 v142, 0x3b9c, v176, v110
	v_fmac_f16_e64 v110, 0xbb9c, v176
	v_fma_f16 v143, 0x3b9c, v141, v128
	v_fmac_f16_e64 v128, 0xbb9c, v141
	;; [unrolled: 2-line block ×5, first 2 shown]
	v_fmac_f16_e64 v41, 0x38b4, v173
	v_fmac_f16_e64 v115, 0xb8b4, v172
	v_fmac_f16_e32 v49, 0x38b4, v113
	v_fmac_f16_e32 v14, 0xb8b4, v113
	v_fmac_f16_e32 v120, 0xb8b4, v8
	v_fmac_f16_e32 v40, 0x38b4, v8
	v_fmac_f16_e64 v42, 0xb8b4, v173
	v_fmac_f16_e64 v47, 0x38b4, v172
	;; [unrolled: 1-line block ×4, first 2 shown]
	v_fmac_f16_e32 v127, 0x38b4, v125
	v_fmac_f16_e32 v15, 0xb8b4, v125
	v_fmac_f16_e64 v134, 0xb8b4, v16
	v_fmac_f16_e32 v45, 0x38b4, v16
	v_add_f16_e64 v112, v149, v150
	v_add_f16_e64 v114, v151, v152
	;; [unrolled: 1-line block ×7, first 2 shown]
	v_add_f16_e32 v11, v11, v13
	v_add_f16_e32 v12, v12, v123
	;; [unrolled: 1-line block ×3, first 2 shown]
	v_fmac_f16_e64 v51, 0xb8b4, v175
	v_fmac_f16_e64 v105, 0x38b4, v174
	v_add_f16_e32 v16, v19, v33
	v_fmac_f16_e64 v135, 0x38b4, v177
	v_fmac_f16_e64 v109, 0xb8b4, v177
	;; [unrolled: 1-line block ×4, first 2 shown]
	v_add_f16_e64 v18, v29, v139
	v_fmac_f16_e64 v140, 0xb8b4, v176
	v_fmac_f16_e64 v122, 0x38b4, v176
	;; [unrolled: 1-line block ×3, first 2 shown]
	v_fmac_f16_e32 v110, 0x38b4, v17
	v_fmac_f16_e64 v143, 0x38b4, v179
	v_fmac_f16_e64 v128, 0xb8b4, v179
	;; [unrolled: 1-line block ×7, first 2 shown]
	v_fmac_f16_e32 v111, 0x38b4, v35
	v_fmac_f16_e32 v41, 0x34f2, v43
	;; [unrolled: 1-line block ×3, first 2 shown]
	v_add_f16_e64 v13, v28, v131
	v_add_f16_e32 v17, v34, v39
	v_add_f16_e64 v19, v37, v147
	v_fmac_f16_e32 v49, 0x34f2, v44
	v_fmac_f16_e32 v14, 0x34f2, v44
	v_fmac_f16_e32 v120, 0x34f2, v48
	v_fmac_f16_e32 v40, 0x34f2, v48
	v_fmac_f16_e32 v42, 0x34f2, v43
	v_fmac_f16_e32 v47, 0x34f2, v46
	v_fmac_f16_e32 v121, 0x34f2, v50
	v_fmac_f16_e64 v129, 0x34f2, v104
	v_fmac_f16_e32 v127, 0x34f2, v103
	v_fmac_f16_e32 v15, 0x34f2, v103
	v_fmac_f16_e64 v134, 0x34f2, v106
	v_fmac_f16_e32 v45, 0x34f2, v106
	v_fmac_f16_e32 v51, 0x34f2, v50
	;; [unrolled: 1-line block ×3, first 2 shown]
	v_fmac_f16_e64 v135, 0x34f2, v107
	v_fmac_f16_e32 v109, 0x34f2, v107
	v_fmac_f16_e64 v137, 0x34f2, v112
	v_fmac_f16_e32 v36, 0x34f2, v112
	;; [unrolled: 2-line block ×4, first 2 shown]
	v_fmac_f16_e64 v143, 0x34f2, v126
	v_fmac_f16_e64 v128, 0x34f2, v126
	;; [unrolled: 1-line block ×8, first 2 shown]
	v_pack_b32_f16 v11, v11, v12
	v_pack_b32_f16 v12, v16, v18
	;; [unrolled: 1-line block ×20, first 2 shown]
	ds_store_2addr_b32 v102, v11, v16 offset1:4
	ds_store_2addr_b32 v102, v17, v14 offset0:8 offset1:12
	ds_store_b32 v102, v18 offset:64
	ds_store_2addr_b32 v101, v8, v19 offset1:4
	ds_store_2addr_b32 v101, v28, v15 offset0:8 offset1:12
	ds_store_b32 v101, v29 offset:64
	;; [unrolled: 3-line block ×4, first 2 shown]
	global_wb scope:SCOPE_SE
	s_wait_dscnt 0x0
	s_barrier_signal -1
	s_barrier_wait -1
	global_inv scope:SCOPE_SE
	s_clause 0x1
	global_load_b128 v[16:19], v[4:5], off offset:64
	global_load_b128 v[12:15], v[6:7], off offset:64
	v_add_co_u32 v4, s2, s10, v9
	s_wait_alu 0xf1ff
	v_add_co_ci_u32_e64 v5, null, s11, 0, s2
	v_add_co_u32 v6, s2, s10, v10
	s_wait_alu 0xf1ff
	v_add_co_ci_u32_e64 v7, null, s11, 0, s2
	s_clause 0x1
	global_load_b128 v[8:11], v[4:5], off offset:64
	global_load_b128 v[4:7], v[6:7], off offset:64
	v_lshrrev_b16 v28, 2, v20
	v_lshrrev_b16 v29, 2, v21
	v_lshlrev_b32_e32 v114, 2, v25
	s_delay_alu instid0(VALU_DEP_3) | instskip(NEXT) | instid1(VALU_DEP_3)
	v_and_b32_e32 v28, 0xffff, v28
	v_and_b32_e32 v29, 0xffff, v29
	s_delay_alu instid0(VALU_DEP_2) | instskip(NEXT) | instid1(VALU_DEP_2)
	v_mul_u32_u24_e32 v28, 0x147b, v28
	v_mul_u32_u24_e32 v33, 0x147b, v29
	s_delay_alu instid0(VALU_DEP_2) | instskip(NEXT) | instid1(VALU_DEP_2)
	v_lshrrev_b32_e32 v28, 17, v28
	v_lshrrev_b32_e32 v26, 17, v33
	s_delay_alu instid0(VALU_DEP_2) | instskip(NEXT) | instid1(VALU_DEP_1)
	v_mul_lo_u16 v32, 0x64, v28
	v_sub_nc_u16 v29, v20, v32
	v_and_b32_e32 v20, 0xffff, v22
	s_delay_alu instid0(VALU_DEP_4) | instskip(NEXT) | instid1(VALU_DEP_3)
	v_mul_lo_u16 v32, 0x64, v26
	v_mul_lo_u16 v22, v29, 36
	s_delay_alu instid0(VALU_DEP_3) | instskip(SKIP_4) | instid1(VALU_DEP_4)
	v_lshlrev_b32_e32 v109, 2, v20
	v_mad_u16 v20, 0x64, v23, v27
	v_mad_u16 v23, 0x64, v24, v30
	v_sub_nc_u16 v24, v21, v32
	v_and_b32_e32 v21, 0xffff, v22
	v_and_b32_e32 v22, 0xffff, v20
	s_delay_alu instid0(VALU_DEP_4) | instskip(NEXT) | instid1(VALU_DEP_4)
	v_and_b32_e32 v23, 0xffff, v23
	v_mul_lo_u16 v27, v24, 36
	s_delay_alu instid0(VALU_DEP_4) | instskip(NEXT) | instid1(VALU_DEP_4)
	v_add_co_u32 v20, s2, s10, v21
	v_lshlrev_b32_e32 v126, 2, v22
	s_delay_alu instid0(VALU_DEP_4) | instskip(NEXT) | instid1(VALU_DEP_4)
	v_lshlrev_b32_e32 v115, 2, v23
	v_and_b32_e32 v22, 0xffff, v27
	ds_load_b32 v23, v82 offset:8000
	ds_load_b32 v25, v82 offset:24000
	ds_load_b32 v27, v82 offset:32000
	ds_load_b32 v30, v82
	ds_load_b32 v31, v82 offset:2000
	ds_load_b32 v32, v82 offset:4000
	;; [unrolled: 1-line block ×16, first 2 shown]
	s_wait_dscnt 0x13
	v_lshrrev_b32_e32 v48, 16, v23
	s_wait_dscnt 0x12
	v_lshrrev_b32_e32 v50, 16, v25
	;; [unrolled: 2-line block ×20, first 2 shown]
	s_wait_alu 0xf1ff
	v_add_co_ci_u32_e64 v21, null, s11, 0, s2
	global_wb scope:SCOPE_SE
	s_wait_loadcnt 0x0
	s_barrier_signal -1
	s_barrier_wait -1
	global_inv scope:SCOPE_SE
	v_mad_u16 v24, 0x3e8, v26, v24
	s_delay_alu instid0(VALU_DEP_1)
	v_and_b32_e32 v24, 0xffff, v24
	v_lshrrev_b32_e32 v177, 16, v16
	v_lshrrev_b32_e32 v176, 16, v17
	;; [unrolled: 1-line block ×8, first 2 shown]
	v_mul_f16_e64 v127, v48, v177
	v_mul_f16_e64 v128, v23, v177
	;; [unrolled: 1-line block ×3, first 2 shown]
	v_lshrrev_b32_e32 v169, 16, v8
	v_lshrrev_b32_e32 v168, 16, v9
	v_lshrrev_b32_e32 v167, 16, v10
	v_lshrrev_b32_e32 v166, 16, v11
	v_lshrrev_b32_e32 v165, 16, v4
	v_lshrrev_b32_e32 v164, 16, v5
	v_lshrrev_b32_e32 v163, 16, v6
	v_lshrrev_b32_e32 v130, 16, v7
	v_mul_f16_e64 v131, v33, v176
	v_mul_f16_e64 v132, v50, v175
	;; [unrolled: 1-line block ×29, first 2 shown]
	v_fma_f16 v23, v23, v16, -v127
	v_fmac_f16_e64 v128, v48, v16
	v_fma_f16 v33, v33, v17, -v129
	v_fmac_f16_e64 v131, v49, v17
	;; [unrolled: 2-line block ×16, first 2 shown]
	v_add_f16_e32 v48, v30, v23
	v_add_f16_e32 v49, v33, v25
	v_sub_f16_e32 v103, v23, v33
	v_sub_f16_e32 v104, v27, v25
	v_add_f16_e64 v105, v47, v128
	v_add_f16_e64 v106, v131, v133
	v_sub_f16_e32 v110, v23, v27
	v_sub_f16_e32 v120, v33, v23
	v_add_f16_e32 v23, v23, v27
	v_add_f16_e64 v123, v128, v135
	v_sub_f16_e32 v121, v25, v27
	v_sub_f16_e64 v122, v131, v128
	v_sub_f16_e64 v127, v133, v135
	v_add_f16_e64 v136, v31, v36
	v_add_f16_e64 v138, v107, v137
	;; [unrolled: 1-line block ×4, first 2 shown]
	v_sub_f16_e64 v50, v128, v135
	v_sub_f16_e64 v112, v128, v131
	;; [unrolled: 1-line block ×7, first 2 shown]
	v_add_f16_e32 v36, v36, v39
	v_sub_f16_e64 v156, v139, v137
	v_add_f16_e64 v137, v137, v143
	v_add_f16_e64 v179, v32, v41
	;; [unrolled: 1-line block ×3, first 2 shown]
	v_sub_f16_e32 v111, v33, v25
	v_sub_f16_e64 v113, v135, v133
	v_sub_f16_e64 v129, v39, v38
	;; [unrolled: 1-line block ×4, first 2 shown]
	v_add_f16_e64 v162, v35, v43
	v_add_f16_e64 v178, v41, v44
	;; [unrolled: 1-line block ×10, first 2 shown]
	v_add_f16_e32 v33, v48, v33
	v_add_f16_e64 v48, v105, v131
	v_add_f16_e32 v103, v103, v104
	v_fma_f16 v49, -0.5, v49, v30
	v_fma_f16 v104, -0.5, v106, v47
	v_sub_f16_e64 v51, v131, v133
	v_fmac_f16_e32 v30, -0.5, v23
	v_fmac_f16_e32 v47, -0.5, v123
	v_sub_f16_e64 v150, v34, v38
	v_add_f16_e32 v23, v120, v121
	v_add_f16_e32 v106, v122, v127
	v_add_f16_e64 v34, v136, v34
	v_add_f16_e64 v120, v138, v139
	v_fma_f16 v121, -0.5, v140, v31
	v_fma_f16 v122, -0.5, v142, v107
	v_sub_f16_e64 v146, v139, v141
	v_sub_f16_e64 v160, v41, v35
	;; [unrolled: 1-line block ×7, first 2 shown]
	v_fmac_f16_e32 v31, -0.5, v36
	v_fmac_f16_e64 v107, -0.5, v137
	v_add_f16_e64 v35, v179, v35
	v_add_f16_e64 v147, v186, v147
	v_sub_f16_e64 v158, v141, v143
	v_sub_f16_e64 v161, v44, v43
	;; [unrolled: 1-line block ×8, first 2 shown]
	v_sub_f16_e32 v41, v41, v44
	v_sub_f16_e64 v145, v145, v151
	v_sub_f16_e32 v42, v42, v46
	v_sub_f16_e64 v153, v153, v159
	v_add_f16_e32 v105, v112, v113
	v_add_f16_e64 v112, v128, v129
	v_add_f16_e64 v113, v132, v134
	;; [unrolled: 1-line block ×3, first 2 shown]
	v_fma_f16 v128, -0.5, v162, v32
	v_fmac_f16_e64 v32, -0.5, v178
	v_fma_f16 v132, -0.5, v184, v124
	v_fmac_f16_e64 v124, -0.5, v185
	;; [unrolled: 2-line block ×4, first 2 shown]
	v_add_f16_e64 v40, v193, v40
	v_add_f16_e64 v152, v200, v155
	v_add_f16_e32 v25, v33, v25
	v_fmamk_f16 v33, v50, 0x3b9c, v49
	v_add_f16_e64 v48, v48, v133
	v_fma_f16 v133, 0xbb9c, v110, v104
	v_fma_f16 v154, 0xbb9c, v51, v30
	v_fmac_f16_e32 v30, 0x3b9c, v51
	v_fma_f16 v155, 0x3b9c, v111, v47
	v_fmac_f16_e32 v47, 0xbb9c, v111
	v_fmac_f16_e32 v49, 0xbb9c, v50
	;; [unrolled: 1-line block ×3, first 2 shown]
	v_add_f16_e32 v34, v34, v38
	v_add_f16_e64 v38, v120, v141
	v_fma_f16 v120, 0x3b9c, v144, v121
	v_fma_f16 v141, 0xbb9c, v148, v122
	v_sub_f16_e64 v181, v43, v44
	v_sub_f16_e64 v183, v151, v149
	;; [unrolled: 1-line block ×3, first 2 shown]
	v_add_f16_e32 v35, v35, v43
	v_add_f16_e64 v43, v147, v149
	v_fma_f16 v147, 0xbb9c, v146, v31
	v_fmac_f16_e64 v31, 0x3b9c, v146
	v_fma_f16 v149, 0x3b9c, v150, v107
	v_fmac_f16_e64 v107, 0xbb9c, v150
	v_sub_f16_e64 v190, v46, v45
	v_sub_f16_e64 v195, v45, v46
	;; [unrolled: 1-line block ×4, first 2 shown]
	v_add_f16_e64 v123, v156, v158
	v_add_f16_e64 v127, v160, v161
	v_add_f16_e32 v40, v40, v45
	v_add_f16_e64 v45, v152, v157
	v_fmac_f16_e64 v121, 0xbb9c, v144
	v_fmac_f16_e64 v122, 0x3b9c, v148
	v_fma_f16 v152, 0x3b9c, v145, v128
	v_fmac_f16_e64 v128, 0xbb9c, v145
	v_fma_f16 v156, 0xbb9c, v204, v32
	;; [unrolled: 2-line block ×8, first 2 shown]
	v_fmac_f16_e64 v125, 0xbb9c, v205
	v_fmac_f16_e32 v33, 0x38b4, v51
	v_fmac_f16_e64 v133, 0xb8b4, v111
	v_fmac_f16_e64 v154, 0x38b4, v50
	v_fmac_f16_e32 v30, 0xb8b4, v50
	v_fmac_f16_e64 v155, 0xb8b4, v110
	v_fmac_f16_e32 v47, 0x38b4, v110
	v_fmac_f16_e32 v49, 0xb8b4, v51
	;; [unrolled: 1-line block ×3, first 2 shown]
	v_fmac_f16_e64 v120, 0x38b4, v146
	v_fmac_f16_e64 v141, 0xb8b4, v150
	;; [unrolled: 1-line block ×6, first 2 shown]
	v_add_f16_e64 v129, v180, v181
	v_add_f16_e64 v131, v182, v183
	v_add_f16_e64 v134, v187, v188
	v_add_f16_e64 v136, v189, v190
	v_add_f16_e64 v138, v194, v195
	v_add_f16_e64 v139, v196, v197
	v_add_f16_e64 v142, v201, v202
	v_add_f16_e32 v25, v25, v27
	v_add_f16_e64 v27, v48, v135
	v_fmac_f16_e64 v121, 0xb8b4, v146
	v_fmac_f16_e64 v122, 0x38b4, v150
	v_fmac_f16_e64 v152, 0x38b4, v204
	v_fmac_f16_e64 v128, 0xb8b4, v204
	v_fmac_f16_e64 v156, 0x38b4, v145
	v_fmac_f16_e64 v32, 0xb8b4, v145
	v_fmac_f16_e64 v157, 0xb8b4, v203
	v_fmac_f16_e64 v132, 0x38b4, v203
	v_fmac_f16_e64 v158, 0xb8b4, v41
	v_fmac_f16_e32 v124, 0x38b4, v41
	v_fmac_f16_e64 v160, 0x38b4, v206
	v_fmac_f16_e64 v137, 0xb8b4, v206
	;; [unrolled: 1-line block ×7, first 2 shown]
	v_fmac_f16_e32 v125, 0x38b4, v42
	v_fmac_f16_e32 v33, 0x34f2, v103
	v_fmac_f16_e64 v133, 0x34f2, v105
	v_add_f16_e32 v34, v34, v39
	v_add_f16_e32 v35, v35, v44
	v_add_f16_e64 v39, v43, v151
	v_fmac_f16_e64 v154, 0x34f2, v23
	v_fmac_f16_e32 v30, 0x34f2, v23
	v_fmac_f16_e64 v155, 0x34f2, v106
	v_fmac_f16_e32 v47, 0x34f2, v106
	v_fmac_f16_e32 v49, 0x34f2, v103
	;; [unrolled: 1-line block ×3, first 2 shown]
	v_add_f16_e64 v38, v38, v143
	v_fmac_f16_e32 v120, 0x34f2, v112
	v_fmac_f16_e64 v141, 0x34f2, v113
	v_fmac_f16_e64 v147, 0x34f2, v36
	v_fmac_f16_e32 v31, 0x34f2, v36
	v_fmac_f16_e64 v149, 0x34f2, v123
	v_fmac_f16_e32 v107, 0x34f2, v123
	v_add_f16_e32 v40, v40, v46
	v_add_f16_e64 v41, v45, v159
	v_pack_b32_f16 v25, v25, v27
	v_fmac_f16_e32 v121, 0x34f2, v112
	v_fmac_f16_e32 v122, 0x34f2, v113
	v_fmac_f16_e64 v152, 0x34f2, v127
	v_fmac_f16_e64 v128, 0x34f2, v127
	;; [unrolled: 1-line block ×16, first 2 shown]
	v_pack_b32_f16 v33, v33, v133
	v_pack_b32_f16 v27, v35, v39
	;; [unrolled: 1-line block ×19, first 2 shown]
	ds_store_2addr_b32 v109, v25, v33 offset1:20
	ds_store_2addr_b32 v109, v35, v30 offset0:40 offset1:60
	ds_store_b32 v109, v36 offset:320
	ds_store_2addr_b32 v126, v23, v38 offset1:20
	ds_store_2addr_b32 v126, v39, v31 offset0:40 offset1:60
	ds_store_b32 v126, v40 offset:320
	;; [unrolled: 3-line block ×4, first 2 shown]
	v_add_co_u32 v30, s2, s10, v22
	s_wait_alu 0xf1ff
	v_add_co_ci_u32_e64 v31, null, s11, 0, s2
	global_wb scope:SCOPE_SE
	s_wait_dscnt 0x0
	s_barrier_signal -1
	s_barrier_wait -1
	global_inv scope:SCOPE_SE
	s_clause 0x5
	global_load_b128 v[48:51], v[20:21], off offset:384
	global_load_b128 v[44:47], v[20:21], off offset:400
	global_load_b32 v113, v[20:21], off offset:416
	global_load_b128 v[40:43], v[30:31], off offset:384
	global_load_b128 v[20:23], v[30:31], off offset:400
	global_load_b32 v107, v[30:31], off offset:416
	v_mad_u16 v25, 0x3e8, v28, v29
	v_lshlrev_b32_e32 v103, 2, v24
	ds_load_b32 v26, v82 offset:4000
	ds_load_b32 v27, v82 offset:8000
	;; [unrolled: 1-line block ×13, first 2 shown]
	ds_load_b32 v38, v82
	ds_load_b32 v39, v82 offset:14000
	ds_load_b32 v120, v82 offset:10000
	;; [unrolled: 1-line block ×6, first 2 shown]
	s_wait_dscnt 0x13
	v_lshrrev_b32_e32 v125, 16, v26
	s_wait_dscnt 0x12
	v_lshrrev_b32_e32 v137, 16, v27
	s_wait_dscnt 0x11
	v_lshrrev_b32_e32 v142, 16, v28
	s_wait_dscnt 0x10
	v_lshrrev_b32_e32 v147, 16, v29
	v_and_b32_e32 v25, 0xffff, v25
	s_wait_dscnt 0xe
	v_lshrrev_b32_e32 v146, 16, v31
	s_wait_dscnt 0xd
	v_lshrrev_b32_e32 v157, 16, v32
	;; [unrolled: 2-line block ×7, first 2 shown]
	v_lshrrev_b32_e32 v158, 16, v30
	s_wait_dscnt 0x6
	v_lshrrev_b32_e32 v152, 16, v38
	s_wait_dscnt 0x5
	;; [unrolled: 2-line block ×3, first 2 shown]
	v_lshrrev_b32_e32 v155, 16, v120
	v_lshlrev_b32_e32 v110, 2, v25
	s_wait_dscnt 0x2
	v_lshrrev_b32_e32 v159, 16, v122
	v_lshrrev_b32_e32 v160, 16, v121
	s_wait_dscnt 0x0
	v_lshrrev_b32_e32 v161, 16, v124
	v_lshrrev_b32_e32 v25, 16, v24
	;; [unrolled: 1-line block ×3, first 2 shown]
	v_add_nc_u32_e32 v111, 0x200, v110
	v_add_nc_u32_e32 v104, 0x400, v110
	;; [unrolled: 1-line block ×3, first 2 shown]
	global_wb scope:SCOPE_SE
	s_wait_loadcnt 0x0
	s_barrier_signal -1
	s_barrier_wait -1
	global_inv scope:SCOPE_SE
	v_add_nc_u32_e32 v106, 0xc00, v110
	s_add_nc_u64 s[2:3], s[8:9], 0x9c40
	v_lshrrev_b32_e32 v141, 16, v44
	v_lshrrev_b32_e32 v140, 16, v45
	;; [unrolled: 1-line block ×15, first 2 shown]
	v_mul_f16_e64 v178, v125, v154
	v_mul_f16_e64 v179, v26, v154
	;; [unrolled: 1-line block ×19, first 2 shown]
	v_lshrrev_b32_e32 v128, 16, v23
	v_mul_f16_e64 v196, v153, v136
	v_mul_f16_e64 v197, v34, v136
	;; [unrolled: 1-line block ×5, first 2 shown]
	v_lshrrev_b32_e32 v129, 16, v22
	v_lshrrev_b32_e32 v112, 16, v107
	v_mul_f16_e64 v202, v157, v133
	v_mul_f16_e64 v203, v32, v133
	v_mul_f16_e64 v205, v30, v132
	v_mul_f16_e64 v206, v159, v131
	v_mul_f16_e64 v207, v122, v131
	v_fma_f16 v26, v26, v48, -v178
	v_fmac_f16_e64 v179, v125, v48
	v_fma_f16 v27, v27, v49, -v180
	v_fmac_f16_e64 v181, v137, v49
	;; [unrolled: 2-line block ×9, first 2 shown]
	v_fma_f16 v120, v120, v41, -v198
	v_mul_f16_e64 v204, v158, v132
	v_mul_f16_e64 v211, v124, v128
	v_fma_f16 v34, v34, v40, -v196
	v_fmac_f16_e64 v197, v153, v40
	v_fmac_f16_e64 v199, v155, v41
	v_fma_f16 v39, v39, v42, -v200
	v_fmac_f16_e64 v201, v156, v42
	v_mul_f16_e64 v209, v121, v129
	v_mul_f16_e64 v210, v161, v128
	;; [unrolled: 1-line block ×3, first 2 shown]
	v_fma_f16 v32, v32, v43, -v202
	v_fmac_f16_e64 v203, v157, v43
	v_fmac_f16_e64 v205, v158, v20
	v_fma_f16 v122, v122, v21, -v206
	v_fmac_f16_e64 v207, v159, v21
	v_sub_f16_e32 v125, v27, v33
	v_sub_f16_e64 v142, v181, v185
	v_sub_f16_e64 v145, v193, v189
	v_sub_f16_e64 v146, v28, v31
	v_sub_f16_e64 v147, v37, v35
	v_sub_f16_e64 v148, v183, v187
	v_sub_f16_e64 v149, v195, v191
	v_add_f16_e64 v150, v38, v27
	v_add_f16_e64 v153, v152, v181
	;; [unrolled: 1-line block ×6, first 2 shown]
	v_sub_f16_e64 v159, v28, v37
	v_add_f16_e64 v178, v33, v29
	v_sub_f16_e64 v186, v27, v36
	v_sub_f16_e64 v190, v33, v27
	v_add_f16_e32 v27, v27, v36
	v_sub_f16_e64 v198, v31, v28
	v_add_f16_e32 v28, v28, v37
	v_add_f16_e64 v218, v24, v120
	v_mul_f16_e64 v208, v160, v129
	v_fma_f16 v30, v30, v20, -v204
	v_fmac_f16_e64 v211, v161, v23
	v_sub_f16_e64 v161, v183, v195
	v_sub_f16_e64 v192, v29, v36
	;; [unrolled: 1-line block ×3, first 2 shown]
	v_add_f16_e64 v183, v183, v195
	v_add_f16_e64 v223, v25, v199
	;; [unrolled: 1-line block ×4, first 2 shown]
	v_mul_f16_e64 v212, v162, v112
	v_fmac_f16_e64 v209, v160, v22
	v_fma_f16 v124, v124, v23, -v210
	v_fmac_f16_e64 v213, v162, v107
	v_sub_f16_e64 v160, v31, v35
	v_sub_f16_e64 v162, v187, v191
	v_sub_f16_e64 v184, v185, v189
	v_sub_f16_e64 v188, v33, v29
	v_sub_f16_e64 v200, v35, v37
	v_sub_f16_e64 v204, v191, v195
	v_sub_f16_e64 v206, v120, v32
	v_add_f16_e64 v219, v32, v122
	v_sub_f16_e64 v220, v32, v120
	v_sub_f16_e64 v230, v32, v122
	v_add_f16_e64 v142, v142, v145
	v_add_f16_e64 v145, v146, v147
	;; [unrolled: 1-line block ×7, first 2 shown]
	v_fma_f16 v149, -0.5, v178, v38
	v_fmac_f16_e32 v38, -0.5, v27
	v_fma_f16 v155, -0.5, v157, v26
	v_fmac_f16_e32 v26, -0.5, v28
	v_fma_f16 v156, -0.5, v158, v179
	v_add_f16_e64 v32, v218, v32
	v_fma_f16 v121, v121, v22, -v208
	v_add_f16_e64 v180, v185, v189
	v_add_f16_e64 v27, v190, v192
	v_fmac_f16_e64 v179, -0.5, v183
	v_add_f16_e64 v187, v223, v203
	v_add_f16_e64 v190, v224, v30
	;; [unrolled: 1-line block ×3, first 2 shown]
	v_sub_f16_e64 v182, v181, v193
	v_sub_f16_e64 v194, v185, v181
	v_add_f16_e64 v181, v181, v193
	v_sub_f16_e64 v137, v36, v29
	v_sub_f16_e64 v196, v189, v193
	;; [unrolled: 1-line block ×4, first 2 shown]
	v_add_f16_e64 v28, v198, v200
	v_add_f16_e64 v157, v202, v204
	v_add_f16_e32 v29, v33, v29
	v_add_f16_e64 v33, v147, v189
	v_add_f16_e32 v31, v31, v35
	;; [unrolled: 2-line block ×3, first 2 shown]
	v_fma_f16 v122, 0x3b9c, v161, v155
	v_fma_f16 v189, 0xbb9c, v184, v38
	v_fmac_f16_e64 v38, 0x3b9c, v184
	v_fma_f16 v200, 0xbb9c, v162, v26
	v_fmac_f16_e64 v26, 0x3b9c, v162
	v_fma_f16 v204, 0xbb9c, v159, v156
	v_fma_f16 v123, v123, v107, -v212
	v_fma_f16 v150, -0.5, v180, v152
	v_fma_f16 v202, 0x3b9c, v160, v179
	v_fmac_f16_e64 v179, 0xbb9c, v160
	v_add_f16_e64 v187, v187, v207
	v_add_f16_e64 v190, v190, v121
	;; [unrolled: 1-line block ×3, first 2 shown]
	v_fmac_f16_e64 v152, -0.5, v181
	v_fmac_f16_e64 v155, 0xbb9c, v161
	v_fmac_f16_e64 v156, 0x3b9c, v159
	v_fma_f16 v147, 0x3b9c, v182, v149
	v_fmac_f16_e64 v149, 0xbb9c, v182
	v_add_f16_e32 v29, v29, v36
	v_add_f16_e64 v33, v33, v193
	v_add_f16_e32 v31, v31, v37
	v_add_f16_e64 v35, v35, v195
	v_fmac_f16_e64 v189, 0x38b4, v182
	v_fmac_f16_e64 v38, 0xb8b4, v182
	;; [unrolled: 1-line block ×6, first 2 shown]
	v_add_f16_e64 v221, v120, v124
	v_sub_f16_e32 v120, v120, v124
	v_fma_f16 v148, 0xbb9c, v186, v150
	v_fmac_f16_e64 v150, 0x3b9c, v186
	v_fmac_f16_e64 v202, 0xb8b4, v159
	v_fmac_f16_e64 v179, 0x38b4, v159
	v_add_f16_e32 v32, v32, v124
	v_add_f16_e64 v36, v187, v211
	v_add_f16_e64 v37, v190, v123
	;; [unrolled: 1-line block ×3, first 2 shown]
	v_fma_f16 v191, 0x3b9c, v188, v152
	v_fmac_f16_e64 v152, 0xbb9c, v188
	v_fmac_f16_e64 v155, 0xb8b4, v162
	;; [unrolled: 1-line block ×3, first 2 shown]
	v_add_f16_e64 v125, v125, v137
	v_fmac_f16_e64 v147, 0x38b4, v184
	v_fmac_f16_e64 v149, 0xb8b4, v184
	;; [unrolled: 1-line block ×3, first 2 shown]
	v_fmac_f16_e32 v38, 0x34f2, v27
	v_fmac_f16_e64 v200, 0x34f2, v28
	v_fmac_f16_e32 v26, 0x34f2, v28
	v_add_f16_e32 v27, v29, v31
	v_fmac_f16_e64 v122, 0x34f2, v145
	v_add_f16_e32 v28, v33, v35
	v_fmac_f16_e64 v204, 0x34f2, v146
	v_fmac_f16_e64 v148, 0xb8b4, v188
	v_fmac_f16_e64 v150, 0x38b4, v188
	v_fmac_f16_e64 v202, 0x34f2, v157
	v_fmac_f16_e64 v179, 0x34f2, v157
	v_sub_f16_e32 v29, v29, v31
	v_sub_f16_e32 v31, v33, v35
	v_add_f16_e32 v33, v32, v37
	v_add_f16_e32 v35, v36, v124
	v_add_f16_e64 v153, v194, v196
	v_fmac_f16_e64 v191, 0xb8b4, v186
	v_fmac_f16_e64 v152, 0x38b4, v186
	;; [unrolled: 1-line block ×6, first 2 shown]
	v_pack_b32_f16 v27, v27, v28
	v_mul_f16_e64 v28, 0x38b4, v204
	v_mul_f16_e32 v125, 0xb8b4, v122
	v_fmac_f16_e64 v148, 0x34f2, v142
	v_fmac_f16_e64 v150, 0x34f2, v142
	v_mul_f16_e64 v142, 0x3b9c, v202
	v_pack_b32_f16 v29, v29, v31
	v_mul_f16_e64 v31, 0xbb9c, v200
	v_pack_b32_f16 v33, v33, v35
	v_mul_f16_e32 v35, 0xb4f2, v26
	v_mul_f16_e64 v145, 0xb4f2, v179
	v_fmac_f16_e64 v191, 0x34f2, v153
	v_fmac_f16_e64 v152, 0x34f2, v153
	v_mul_f16_e64 v146, 0xba79, v155
	v_mul_f16_e64 v153, 0xba79, v156
	v_fmac_f16_e32 v28, 0x3a79, v122
	v_fmac_f16_e64 v125, 0x3a79, v204
	v_fmac_f16_e64 v142, 0x34f2, v200
	;; [unrolled: 1-line block ×7, first 2 shown]
	v_add_f16_e64 v26, v147, v28
	v_add_f16_e64 v122, v148, v125
	;; [unrolled: 1-line block ×5, first 2 shown]
	v_sub_f16_e64 v28, v147, v28
	v_add_f16_e64 v147, v152, v145
	v_add_f16_e64 v161, v149, v146
	v_sub_f16_e64 v125, v148, v125
	v_add_f16_e64 v148, v150, v153
	v_sub_f16_e64 v142, v189, v142
	v_sub_f16_e64 v31, v191, v31
	v_pack_b32_f16 v26, v26, v122
	v_pack_b32_f16 v122, v155, v156
	;; [unrolled: 1-line block ×6, first 2 shown]
	v_add_f16_e64 v233, v203, v207
	ds_store_2addr_b32 v110, v27, v26 offset1:100
	ds_store_2addr_b32 v111, v122, v147 offset0:72 offset1:172
	ds_store_2addr_b32 v104, v148, v29 offset0:144 offset1:244
	;; [unrolled: 1-line block ×3, first 2 shown]
	v_add_f16_e64 v26, v199, v211
	v_sub_f16_e64 v27, v203, v199
	v_sub_f16_e64 v28, v207, v211
	v_add_f16_e64 v226, v30, v121
	v_add_f16_e64 v227, v205, v209
	v_fma_f16 v198, -0.5, v233, v25
	v_fmac_f16_e32 v25, -0.5, v26
	v_add_f16_e64 v26, v201, v213
	v_add_f16_e32 v27, v27, v28
	v_add_f16_e32 v28, v39, v123
	v_sub_f16_e64 v229, v30, v121
	v_sub_f16_e64 v232, v205, v209
	v_fma_f16 v194, -0.5, v226, v34
	v_fma_f16 v196, -0.5, v227, v197
	v_fmac_f16_e64 v197, -0.5, v26
	v_fmac_f16_e32 v34, -0.5, v28
	v_sub_f16_e64 v214, v39, v30
	v_sub_f16_e64 v215, v123, v121
	;; [unrolled: 1-line block ×4, first 2 shown]
	v_sub_f16_e32 v29, v30, v39
	v_sub_f16_e32 v30, v121, v123
	v_sub_f16_e64 v28, v205, v201
	v_sub_f16_e64 v31, v209, v213
	v_fma_f16 v39, 0x3b9c, v229, v197
	v_fma_f16 v121, 0xbb9c, v232, v34
	v_sub_f16_e64 v137, v203, v207
	v_fma_f16 v183, -0.5, v219, v24
	v_fmac_f16_e64 v24, -0.5, v221
	v_add_f16_e32 v28, v28, v31
	v_fmac_f16_e64 v39, 0xb8b4, v228
	v_add_f16_e32 v29, v29, v30
	v_fmac_f16_e64 v121, 0x38b4, v231
	v_sub_f16_e64 v216, v201, v205
	v_sub_f16_e64 v217, v213, v209
	v_add_f16_e64 v158, v206, v208
	v_fma_f16 v206, 0xbb9c, v228, v196
	v_fma_f16 v208, 0x3b9c, v231, v194
	v_fmac_f16_e64 v34, 0x3b9c, v232
	v_fmac_f16_e64 v197, 0xbb9c, v229
	v_sub_f16_e64 v234, v199, v211
	v_add_f16_e64 v180, v214, v215
	v_fma_f16 v214, 0xbb9c, v137, v24
	v_fma_f16 v26, 0x3b9c, v230, v25
	v_fmac_f16_e32 v39, 0x34f2, v28
	v_fmac_f16_e32 v121, 0x34f2, v29
	v_sub_f16_e64 v210, v199, v203
	v_sub_f16_e64 v212, v211, v207
	v_add_f16_e64 v181, v216, v217
	v_fmac_f16_e64 v206, 0xb8b4, v229
	v_fmac_f16_e64 v208, 0x38b4, v232
	;; [unrolled: 1-line block ×5, first 2 shown]
	v_add_f16_e64 v185, v220, v222
	v_fmac_f16_e64 v214, 0x38b4, v234
	v_fmac_f16_e32 v26, 0xb8b4, v120
	v_mul_f16_e32 v30, 0x3b9c, v39
	v_mul_f16_e32 v31, 0xbb9c, v121
	v_fmac_f16_e64 v194, 0xbb9c, v231
	v_fmac_f16_e64 v196, 0x3b9c, v228
	v_add_f16_e64 v178, v210, v212
	v_fma_f16 v210, 0x3b9c, v234, v183
	v_fma_f16 v212, 0xbb9c, v120, v198
	v_fmac_f16_e64 v206, 0x34f2, v181
	v_fmac_f16_e64 v208, 0x34f2, v180
	;; [unrolled: 1-line block ×3, first 2 shown]
	v_fmac_f16_e32 v25, 0x38b4, v120
	v_fmac_f16_e32 v34, 0x34f2, v29
	v_fmac_f16_e64 v197, 0x34f2, v28
	v_fmac_f16_e64 v214, 0x34f2, v185
	v_fmac_f16_e32 v26, 0x34f2, v27
	v_fmac_f16_e32 v30, 0x34f2, v121
	;; [unrolled: 1-line block ×3, first 2 shown]
	v_fmac_f16_e64 v194, 0xb8b4, v232
	v_fmac_f16_e64 v196, 0x38b4, v229
	v_fmac_f16_e64 v210, 0x38b4, v137
	v_fmac_f16_e64 v212, 0xb8b4, v230
	v_mul_f16_e64 v157, 0x38b4, v206
	v_mul_f16_e64 v159, 0xb8b4, v208
	v_fmac_f16_e64 v24, 0xb8b4, v234
	v_fmac_f16_e32 v25, 0x34f2, v27
	v_mul_f16_e32 v27, 0xb4f2, v34
	v_mul_f16_e64 v28, 0xb4f2, v197
	v_add_f16_e64 v29, v214, v30
	v_add_f16_e32 v39, v26, v31
	v_fmac_f16_e64 v183, 0xbb9c, v234
	v_fmac_f16_e64 v198, 0x3b9c, v120
	;; [unrolled: 1-line block ×10, first 2 shown]
	v_fmac_f16_e32 v28, 0xbb9c, v34
	v_pack_b32_f16 v29, v29, v39
	v_fmac_f16_e64 v183, 0xb8b4, v137
	v_fmac_f16_e64 v198, 0x38b4, v230
	v_mul_f16_e64 v39, 0xba79, v194
	v_mul_f16_e64 v122, 0xba79, v196
	v_sub_f16_e32 v35, v38, v35
	v_sub_f16_e64 v38, v149, v146
	v_sub_f16_e64 v145, v152, v145
	;; [unrolled: 1-line block ×3, first 2 shown]
	v_add_f16_e64 v149, v210, v157
	v_add_f16_e64 v150, v212, v159
	v_add_f16_e32 v34, v24, v27
	v_add_f16_e32 v120, v25, v28
	v_fmac_f16_e64 v183, 0x34f2, v158
	v_fmac_f16_e64 v198, 0x34f2, v178
	;; [unrolled: 1-line block ×4, first 2 shown]
	v_pack_b32_f16 v35, v35, v145
	v_pack_b32_f16 v38, v38, v146
	;; [unrolled: 1-line block ×4, first 2 shown]
	v_add_nc_u32_e32 v120, 0x200, v103
	v_sub_f16_e32 v32, v32, v37
	v_add_f16_e64 v37, v183, v39
	v_add_f16_e64 v121, v198, v122
	v_sub_f16_e32 v36, v36, v124
	ds_store_2addr_b32 v106, v35, v38 offset0:32 offset1:132
	ds_store_2addr_b32 v103, v33, v125 offset1:100
	ds_store_2addr_b32 v120, v29, v34 offset0:72 offset1:172
	v_sub_f16_e64 v33, v210, v157
	v_sub_f16_e64 v30, v214, v30
	;; [unrolled: 1-line block ×3, first 2 shown]
	v_sub_f16_e32 v26, v26, v31
	v_sub_f16_e32 v24, v24, v27
	v_sub_f16_e64 v27, v183, v39
	v_sub_f16_e32 v25, v25, v28
	v_sub_f16_e64 v28, v198, v122
	v_mad_co_u64_u32 v[145:146], null, v84, 36, s[10:11]
	v_pack_b32_f16 v29, v37, v121
	v_pack_b32_f16 v32, v32, v36
	v_add_nc_u32_e32 v121, 0x400, v103
	v_pack_b32_f16 v31, v33, v34
	v_pack_b32_f16 v26, v30, v26
	v_add_nc_u32_e32 v123, 0x800, v103
	;; [unrolled: 3-line block ×3, first 2 shown]
	ds_store_2addr_b32 v121, v29, v32 offset0:144 offset1:244
	ds_store_2addr_b32 v123, v31, v26 offset0:88 offset1:188
	;; [unrolled: 1-line block ×3, first 2 shown]
	global_wb scope:SCOPE_SE
	s_wait_dscnt 0x0
	s_barrier_signal -1
	s_barrier_wait -1
	global_inv scope:SCOPE_SE
	s_clause 0x5
	global_load_b128 v[28:31], v[145:146], off offset:3984
	global_load_b128 v[24:27], v[145:146], off offset:4000
	global_load_b32 v125, v[145:146], off offset:4016
	global_load_b128 v[32:35], v[145:146], off offset:21984
	global_load_b128 v[36:39], v[145:146], off offset:22000
	global_load_b32 v122, v[145:146], off offset:22016
	ds_load_b32 v188, v82 offset:4000
	ds_load_b32 v192, v82 offset:12000
	;; [unrolled: 1-line block ×17, first 2 shown]
	ds_load_b32 v179, v82
	ds_load_b32 v178, v82 offset:2000
	ds_load_b32 v197, v82 offset:34000
	s_wait_dscnt 0x13
	v_lshrrev_b32_e32 v198, 16, v188
	s_wait_dscnt 0x12
	v_lshrrev_b32_e32 v200, 16, v192
	;; [unrolled: 2-line block ×19, first 2 shown]
	s_wait_loadcnt 0x5
	v_lshrrev_b32_e32 v161, 16, v29
	v_lshrrev_b32_e32 v160, 16, v30
	;; [unrolled: 1-line block ×3, first 2 shown]
	s_wait_loadcnt 0x4
	v_lshrrev_b32_e32 v158, 16, v24
	v_lshrrev_b32_e32 v157, 16, v25
	;; [unrolled: 1-line block ×4, first 2 shown]
	s_wait_loadcnt 0x3
	v_lshrrev_b32_e32 v153, 16, v125
	v_lshrrev_b32_e32 v162, 16, v28
	s_wait_loadcnt 0x1
	v_lshrrev_b32_e32 v147, 16, v36
	v_lshrrev_b32_e32 v146, 16, v37
	;; [unrolled: 1-line block ×4, first 2 shown]
	v_mul_f16_e64 v220, v193, v161
	v_mul_f16_e64 v221, v200, v160
	;; [unrolled: 1-line block ×10, first 2 shown]
	v_lshrrev_b32_e32 v152, 16, v32
	v_lshrrev_b32_e32 v150, 16, v33
	;; [unrolled: 1-line block ×3, first 2 shown]
	s_wait_loadcnt 0x0
	v_lshrrev_b32_e32 v137, 16, v122
	v_mul_f16_e64 v217, v198, v162
	v_mul_f16_e64 v218, v188, v162
	;; [unrolled: 1-line block ×8, first 2 shown]
	v_fmac_f16_e64 v220, v199, v29
	v_fma_f16 v192, v192, v30, -v221
	v_fma_f16 v191, v191, v31, -v223
	v_fmac_f16_e64 v224, v201, v31
	v_fma_f16 v190, v190, v24, -v225
	v_mul_f16_e64 v223, v211, v147
	v_fma_f16 v189, v189, v25, -v227
	v_mul_f16_e64 v225, v212, v146
	v_fmac_f16_e64 v228, v203, v25
	v_fma_f16 v187, v187, v26, -v229
	v_mul_f16_e64 v227, v213, v145
	v_mul_f16_e64 v229, v214, v142
	v_fmac_f16_e64 v232, v205, v27
	v_fma_f16 v184, v184, v125, -v233
	v_lshrrev_b32_e32 v149, 16, v34
	v_fma_f16 v217, v188, v28, -v217
	v_fmac_f16_e64 v218, v198, v28
	v_mul_f16_e64 v188, v182, v152
	v_fma_f16 v193, v193, v29, -v219
	v_mul_f16_e64 v198, v208, v150
	v_fmac_f16_e64 v222, v200, v30
	v_mul_f16_e64 v201, v181, v148
	v_fmac_f16_e64 v226, v202, v24
	v_mul_f16_e64 v202, v180, v147
	v_mul_f16_e64 v203, v195, v146
	v_fmac_f16_e64 v230, v204, v26
	v_mul_f16_e64 v204, v194, v145
	v_fma_f16 v186, v186, v27, -v231
	v_mul_f16_e64 v205, v197, v142
	v_mul_f16_e64 v231, v215, v137
	v_fmac_f16_e64 v234, v206, v125
	v_fma_f16 v180, v180, v36, -v223
	v_fma_f16 v195, v195, v37, -v225
	;; [unrolled: 1-line block ×4, first 2 shown]
	v_sub_f16_e64 v223, v224, v220
	v_sub_f16_e64 v225, v228, v232
	;; [unrolled: 1-line block ×4, first 2 shown]
	v_mul_f16_e64 v235, v207, v152
	v_mul_f16_e64 v199, v185, v150
	v_mul_f16_e64 v219, v209, v149
	v_mul_f16_e64 v200, v183, v149
	v_mul_f16_e64 v221, v210, v148
	v_mul_f16_e64 v206, v196, v137
	v_fmac_f16_e64 v188, v207, v32
	v_fma_f16 v185, v185, v33, -v198
	v_fmac_f16_e64 v201, v210, v35
	v_fma_f16 v196, v196, v122, -v231
	v_sub_f16_e64 v198, v193, v191
	v_sub_f16_e64 v207, v186, v189
	v_add_f16_e64 v210, v179, v193
	v_add_f16_e64 v231, v190, v187
	;; [unrolled: 1-line block ×7, first 2 shown]
	v_fmac_f16_e64 v199, v208, v33
	v_fma_f16 v183, v183, v34, -v219
	v_fmac_f16_e64 v200, v209, v34
	v_fmac_f16_e64 v202, v211, v36
	;; [unrolled: 1-line block ×6, first 2 shown]
	v_add_f16_e64 v208, v191, v189
	v_add_f16_e64 v209, v193, v186
	v_sub_f16_e64 v211, v191, v193
	v_sub_f16_e64 v212, v189, v186
	;; [unrolled: 1-line block ×4, first 2 shown]
	v_add_f16_e64 v215, v224, v228
	v_add_f16_e64 v219, v220, v232
	;; [unrolled: 1-line block ×4, first 2 shown]
	v_fma_f16 v231, -0.5, v231, v217
	v_fmac_f16_e64 v217, -0.5, v233
	v_add_f16_e64 v233, v218, v222
	v_fma_f16 v225, -0.5, v225, v218
	v_fmac_f16_e64 v218, -0.5, v229
	v_sub_f16_e64 v229, v191, v189
	v_add_f16_e64 v191, v210, v191
	v_fma_f16 v181, v181, v35, -v221
	v_add_f16_e64 v221, v216, v220
	v_fma_f16 v208, -0.5, v208, v179
	v_fmac_f16_e64 v179, -0.5, v209
	v_sub_f16_e64 v209, v190, v192
	v_add_f16_e64 v211, v211, v212
	v_sub_f16_e64 v212, v187, v184
	v_add_f16_e64 v213, v213, v214
	v_sub_f16_e64 v214, v222, v226
	v_fma_f16 v215, -0.5, v215, v216
	v_fmac_f16_e64 v216, -0.5, v219
	v_sub_f16_e64 v219, v234, v230
	v_sub_f16_e64 v192, v192, v184
	v_add_f16_e64 v189, v191, v189
	v_add_f16_e64 v209, v209, v212
	v_sub_f16_e64 v212, v226, v222
	v_add_f16_e64 v214, v214, v219
	v_sub_f16_e64 v219, v230, v234
	v_sub_f16_e64 v210, v224, v228
	v_add_f16_e64 v221, v221, v224
	v_sub_f16_e64 v224, v190, v187
	v_add_f16_e64 v190, v207, v190
	v_sub_f16_e64 v207, v226, v230
	v_sub_f16_e64 v193, v193, v186
	;; [unrolled: 1-line block ×4, first 2 shown]
	v_add_f16_e64 v226, v233, v226
	v_add_f16_e64 v186, v189, v186
	v_fma_f16 v189, 0xbb9c, v192, v225
	v_add_f16_e64 v212, v212, v219
	v_add_f16_e64 v187, v190, v187
	;; [unrolled: 1-line block ×3, first 2 shown]
	v_fma_f16 v219, 0x3b9c, v220, v208
	v_fmac_f16_e64 v208, 0xbb9c, v220
	v_fma_f16 v230, 0x3b9c, v222, v231
	v_fma_f16 v233, 0xbb9c, v207, v217
	v_fmac_f16_e64 v217, 0x3b9c, v207
	v_fmac_f16_e64 v189, 0xb8b4, v224
	v_add_f16_e64 v191, v221, v228
	v_fma_f16 v221, 0xbb9c, v210, v179
	v_fmac_f16_e64 v179, 0x3b9c, v210
	v_fmac_f16_e64 v219, 0x38b4, v210
	;; [unrolled: 1-line block ×3, first 2 shown]
	v_fma_f16 v210, 0x3b9c, v224, v218
	v_fmac_f16_e64 v218, 0xbb9c, v224
	v_add_f16_e64 v184, v187, v184
	v_fmac_f16_e64 v230, 0x38b4, v207
	v_fmac_f16_e64 v217, 0xb8b4, v222
	;; [unrolled: 1-line block ×4, first 2 shown]
	v_add_f16_e64 v187, v190, v234
	v_fmac_f16_e64 v210, 0xb8b4, v192
	v_fmac_f16_e64 v218, 0x38b4, v192
	;; [unrolled: 1-line block ×4, first 2 shown]
	v_add_f16_e64 v190, v186, v184
	v_sub_f16_e64 v184, v186, v184
	v_mul_f16_e64 v186, 0x38b4, v189
	v_fma_f16 v228, 0x3b9c, v229, v216
	v_fmac_f16_e64 v216, 0xbb9c, v229
	v_fmac_f16_e64 v225, 0x3b9c, v192
	v_fmac_f16_e64 v231, 0xb8b4, v207
	v_fmac_f16_e64 v233, 0x38b4, v222
	v_fmac_f16_e64 v219, 0x34f2, v198
	v_fmac_f16_e64 v210, 0x34f2, v212
	v_fmac_f16_e64 v218, 0x34f2, v212
	v_mul_f16_e64 v192, 0xb8b4, v230
	v_mul_f16_e64 v207, 0xb4f2, v217
	v_fmac_f16_e64 v186, 0x3a79, v230
	v_fma_f16 v226, 0xbb9c, v193, v215
	v_fmac_f16_e64 v215, 0x3b9c, v193
	v_fmac_f16_e64 v221, 0x38b4, v220
	;; [unrolled: 1-line block ×8, first 2 shown]
	v_mul_f16_e64 v193, 0x3b9c, v210
	v_mul_f16_e64 v209, 0xb4f2, v218
	v_fmac_f16_e64 v192, 0x3a79, v189
	v_fmac_f16_e64 v207, 0x3b9c, v218
	v_add_f16_e64 v189, v219, v186
	v_sub_f16_e64 v186, v219, v186
	v_sub_f16_e64 v218, v185, v181
	;; [unrolled: 1-line block ×3, first 2 shown]
	v_fmac_f16_e64 v226, 0xb8b4, v229
	v_fmac_f16_e64 v208, 0x34f2, v198
	;; [unrolled: 1-line block ×6, first 2 shown]
	v_mul_f16_e64 v198, 0xbb9c, v233
	v_mul_f16_e64 v211, 0xba79, v231
	v_fmac_f16_e64 v193, 0x34f2, v233
	v_fmac_f16_e64 v209, 0xbb9c, v217
	v_add_f16_e64 v217, v181, v195
	v_add_f16_e64 v218, v218, v219
	;; [unrolled: 1-line block ×4, first 2 shown]
	v_fmac_f16_e64 v215, 0x38b4, v229
	v_fmac_f16_e64 v226, 0x34f2, v213
	;; [unrolled: 1-line block ×4, first 2 shown]
	v_add_f16_e64 v210, v221, v193
	v_sub_f16_e64 v193, v221, v193
	v_add_f16_e64 v220, v216, v209
	v_sub_f16_e64 v209, v216, v209
	v_fma_f16 v216, -0.5, v217, v178
	v_lshrrev_b32_e32 v221, 16, v178
	v_add_f16_e64 v222, v178, v185
	v_sub_f16_e64 v224, v201, v203
	v_fmac_f16_e64 v178, -0.5, v219
	v_fmac_f16_e64 v215, 0x34f2, v213
	v_mul_f16_e64 v212, 0xba79, v225
	v_add_f16_e64 v213, v179, v207
	v_sub_f16_e64 v179, v179, v207
	v_add_f16_e64 v207, v208, v211
	v_sub_f16_e64 v208, v208, v211
	;; [unrolled: 2-line block ×4, first 2 shown]
	v_sub_f16_e64 v217, v199, v205
	v_sub_f16_e64 v219, v181, v185
	;; [unrolled: 1-line block ×3, first 2 shown]
	v_fma_f16 v226, 0xbb9c, v224, v178
	v_fmac_f16_e64 v178, 0x3b9c, v224
	v_fmac_f16_e64 v228, 0x34f2, v223
	;; [unrolled: 1-line block ×3, first 2 shown]
	v_fma_f16 v223, 0x3b9c, v217, v216
	v_fmac_f16_e64 v216, 0xbb9c, v217
	v_add_f16_e64 v219, v219, v225
	v_add_f16_e64 v222, v222, v181
	v_fmac_f16_e64 v226, 0x38b4, v217
	v_fmac_f16_e64 v178, 0xb8b4, v217
	;; [unrolled: 1-line block ×4, first 2 shown]
	v_add_f16_e64 v217, v215, v212
	v_sub_f16_e64 v212, v215, v212
	v_add_f16_e64 v215, v222, v195
	v_fmac_f16_e64 v226, 0x34f2, v219
	v_fmac_f16_e64 v178, 0x34f2, v219
	v_add_f16_e64 v219, v201, v203
	v_fmac_f16_e64 v223, 0x34f2, v218
	v_fmac_f16_e64 v216, 0x34f2, v218
	v_add_f16_e64 v215, v215, v197
	v_add_f16_e64 v218, v221, v199
	v_sub_f16_e64 v185, v185, v197
	v_sub_f16_e64 v197, v199, v201
	;; [unrolled: 1-line block ×3, first 2 shown]
	v_fma_f16 v219, -0.5, v219, v221
	v_sub_f16_e64 v181, v181, v195
	v_add_f16_e64 v195, v199, v205
	v_add_f16_e64 v218, v218, v201
	;; [unrolled: 1-line block ×3, first 2 shown]
	v_fma_f16 v222, 0xbb9c, v185, v219
	v_fmac_f16_e64 v219, 0x3b9c, v185
	v_fmac_f16_e64 v221, -0.5, v195
	v_add_f16_e64 v218, v218, v203
	v_sub_f16_e64 v195, v201, v199
	v_fmac_f16_e64 v222, 0xb8b4, v181
	v_fmac_f16_e64 v219, 0x38b4, v181
	v_sub_f16_e64 v201, v203, v205
	v_fma_f16 v203, 0x3b9c, v181, v221
	v_fmac_f16_e64 v221, 0xbb9c, v181
	v_fma_f16 v182, v182, v32, -v235
	v_fmac_f16_e64 v222, 0x34f2, v197
	v_fmac_f16_e64 v219, 0x34f2, v197
	v_add_f16_e64 v181, v180, v194
	v_add_f16_e64 v195, v195, v201
	v_fmac_f16_e64 v203, 0xb8b4, v185
	v_sub_f16_e64 v197, v183, v180
	v_sub_f16_e64 v201, v196, v194
	v_fmac_f16_e64 v221, 0x38b4, v185
	v_add_f16_e64 v185, v183, v196
	v_fma_f16 v181, -0.5, v181, v182
	v_sub_f16_e64 v224, v202, v204
	v_add_f16_e64 v197, v197, v201
	v_add_f16_e64 v201, v182, v183
	v_fmac_f16_e64 v182, -0.5, v185
	v_add_f16_e64 v199, v218, v205
	v_sub_f16_e64 v205, v200, v206
	v_sub_f16_e64 v185, v180, v183
	;; [unrolled: 1-line block ×3, first 2 shown]
	v_fma_f16 v227, 0xbb9c, v224, v182
	v_fmac_f16_e64 v182, 0x3b9c, v224
	v_add_f16_e64 v201, v201, v180
	v_fmac_f16_e64 v203, 0x34f2, v195
	v_add_f16_e64 v185, v185, v225
	v_fmac_f16_e64 v227, 0x38b4, v205
	v_fmac_f16_e64 v182, 0xb8b4, v205
	;; [unrolled: 1-line block ×3, first 2 shown]
	v_add_f16_e64 v195, v201, v194
	v_fma_f16 v218, 0x3b9c, v205, v181
	v_fmac_f16_e64 v181, 0xbb9c, v205
	v_fmac_f16_e64 v227, 0x34f2, v185
	v_fmac_f16_e64 v182, 0x34f2, v185
	v_add_f16_e64 v185, v195, v196
	v_add_f16_e64 v195, v202, v204
	v_sub_f16_e64 v180, v180, v194
	v_add_f16_e64 v194, v200, v206
	v_fmac_f16_e64 v218, 0x38b4, v224
	v_fmac_f16_e64 v181, 0xb8b4, v224
	v_sub_f16_e64 v183, v183, v196
	v_add_f16_e64 v196, v188, v200
	v_fma_f16 v195, -0.5, v195, v188
	v_fmac_f16_e64 v188, -0.5, v194
	v_fmac_f16_e64 v218, 0x34f2, v197
	v_fmac_f16_e64 v181, 0x34f2, v197
	v_sub_f16_e64 v197, v200, v202
	v_sub_f16_e64 v201, v206, v204
	v_add_f16_e64 v194, v196, v202
	v_sub_f16_e64 v196, v202, v200
	v_fma_f16 v200, 0xbb9c, v183, v195
	v_sub_f16_e64 v202, v204, v206
	v_fma_f16 v205, 0x3b9c, v180, v188
	v_fmac_f16_e64 v195, 0x3b9c, v183
	v_fmac_f16_e64 v188, 0xbb9c, v180
	v_add_f16_e64 v197, v197, v201
	v_fmac_f16_e64 v200, 0xb8b4, v180
	v_add_f16_e64 v196, v196, v202
	v_fmac_f16_e64 v205, 0xb8b4, v183
	v_fmac_f16_e64 v195, 0x38b4, v180
	v_fmac_f16_e64 v188, 0x38b4, v183
	v_fmac_f16_e64 v200, 0x34f2, v197
	v_add_f16_e64 v194, v194, v204
	v_fmac_f16_e64 v205, 0x34f2, v196
	v_fmac_f16_e64 v195, 0x34f2, v197
	v_mul_f16_e64 v183, 0xb8b4, v218
	v_fmac_f16_e64 v188, 0x34f2, v196
	v_mul_f16_e64 v180, 0x38b4, v200
	v_mul_f16_e64 v201, 0x3b9c, v205
	;; [unrolled: 1-line block ×3, first 2 shown]
	v_add_f16_e64 v194, v194, v206
	v_mul_f16_e64 v204, 0xba79, v195
	v_fmac_f16_e64 v183, 0x3a79, v200
	v_mul_f16_e64 v197, 0xb4f2, v182
	v_mul_f16_e64 v200, 0xb4f2, v188
	;; [unrolled: 1-line block ×3, first 2 shown]
	v_fmac_f16_e64 v180, 0x3a79, v218
	v_fmac_f16_e64 v201, 0x34f2, v227
	;; [unrolled: 1-line block ×4, first 2 shown]
	v_add_f16_e64 v181, v215, v185
	v_add_f16_e64 v205, v199, v194
	v_fmac_f16_e64 v197, 0x3b9c, v188
	v_fmac_f16_e64 v200, 0xbb9c, v182
	;; [unrolled: 1-line block ×3, first 2 shown]
	v_add_f16_e64 v214, v228, v198
	v_pack_b32_f16 v208, v208, v212
	v_pack_b32_f16 v190, v190, v211
	v_sub_f16_e64 v182, v215, v185
	v_add_f16_e64 v185, v223, v180
	v_add_f16_e64 v188, v226, v201
	v_sub_f16_e64 v194, v199, v194
	v_add_f16_e64 v199, v222, v183
	v_add_f16_e64 v212, v203, v196
	v_pack_b32_f16 v189, v189, v191
	v_pack_b32_f16 v181, v181, v205
	v_sub_f16_e64 v195, v226, v201
	v_add_f16_e64 v201, v178, v197
	v_sub_f16_e64 v178, v178, v197
	v_add_f16_e64 v197, v216, v202
	;; [unrolled: 2-line block ×4, first 2 shown]
	v_sub_f16_e64 v204, v219, v204
	ds_store_b32 v82, v208 offset:36000
	ds_store_b32 v82, v190
	v_pack_b32_f16 v190, v210, v214
	v_pack_b32_f16 v191, v213, v220
	v_sub_f16_e64 v198, v228, v198
	v_pack_b32_f16 v185, v185, v199
	ds_store_b32 v82, v189 offset:4000
	ds_store_b32 v82, v181 offset:2000
	v_pack_b32_f16 v181, v188, v212
	v_sub_f16_e64 v180, v223, v180
	v_sub_f16_e64 v183, v222, v183
	;; [unrolled: 1-line block ×3, first 2 shown]
	v_pack_b32_f16 v178, v178, v200
	v_pack_b32_f16 v200, v202, v204
	;; [unrolled: 1-line block ×5, first 2 shown]
	ds_store_b32 v82, v190 offset:8000
	ds_store_b32 v82, v185 offset:6000
	v_pack_b32_f16 v185, v201, v206
	ds_store_b32 v82, v191 offset:12000
	ds_store_b32 v82, v181 offset:10000
	v_pack_b32_f16 v181, v197, v215
	v_pack_b32_f16 v182, v182, v194
	;; [unrolled: 1-line block ×5, first 2 shown]
	ds_store_b32 v82, v202 offset:16000
	ds_store_b32 v82, v185 offset:14000
	;; [unrolled: 1-line block ×4, first 2 shown]
	v_pack_b32_f16 v181, v195, v196
	ds_store_b32 v82, v186 offset:24000
	ds_store_b32 v82, v182 offset:22000
	;; [unrolled: 1-line block ×8, first 2 shown]
	global_wb scope:SCOPE_SE
	s_wait_dscnt 0x0
	s_barrier_signal -1
	s_barrier_wait -1
	global_inv scope:SCOPE_SE
	s_clause 0x13
	global_load_b32 v178, v82, s[8:9] offset:40000
	global_load_b32 v179, v82, s[2:3] offset:10000
	global_load_b32 v180, v82, s[2:3] offset:20000
	global_load_b32 v181, v82, s[2:3] offset:30000
	global_load_b32 v182, v82, s[2:3] offset:2000
	global_load_b32 v183, v82, s[2:3] offset:12000
	global_load_b32 v184, v82, s[2:3] offset:22000
	global_load_b32 v185, v82, s[2:3] offset:32000
	global_load_b32 v186, v82, s[2:3] offset:4000
	global_load_b32 v187, v82, s[2:3] offset:14000
	global_load_b32 v188, v82, s[2:3] offset:24000
	global_load_b32 v189, v82, s[2:3] offset:34000
	global_load_b32 v190, v82, s[2:3] offset:6000
	global_load_b32 v191, v82, s[2:3] offset:16000
	global_load_b32 v192, v82, s[2:3] offset:26000
	global_load_b32 v193, v82, s[2:3] offset:36000
	global_load_b32 v194, v82, s[2:3] offset:8000
	global_load_b32 v195, v82, s[2:3] offset:18000
	global_load_b32 v196, v82, s[2:3] offset:38000
	global_load_b32 v197, v82, s[2:3] offset:28000
	ds_load_b32 v198, v82
	ds_load_b32 v199, v82 offset:10000
	ds_load_b32 v200, v82 offset:20000
	;; [unrolled: 1-line block ×19, first 2 shown]
	s_wait_dscnt 0x13
	v_lshrrev_b32_e32 v218, 16, v198
	s_wait_dscnt 0x12
	v_lshrrev_b32_e32 v219, 16, v199
	;; [unrolled: 2-line block ×11, first 2 shown]
	s_mov_b32 s8, 0xeb1c432d
	s_wait_dscnt 0x7
	v_lshrrev_b32_e32 v230, 16, v210
	s_mov_b32 s9, 0x3f1a36e2
	s_wait_dscnt 0x4
	v_lshrrev_b32_e32 v233, 16, v213
	s_wait_loadcnt 0x12
	v_lshrrev_b32_e32 v232, 16, v179
	s_wait_loadcnt 0x11
	v_lshrrev_b32_e32 v234, 16, v180
	v_lshrrev_b32_e32 v226, 16, v178
	s_delay_alu instid0(VALU_DEP_1) | instskip(SKIP_1) | instid1(VALU_DEP_2)
	v_mul_f16_e64 v231, v218, v226
	v_mul_f16_e64 v226, v198, v226
	v_fma_f16 v198, v198, v178, -v231
	v_mul_f16_e64 v231, v219, v232
	s_delay_alu instid0(VALU_DEP_3)
	v_fmac_f16_e64 v226, v218, v178
	v_mul_f16_e64 v218, v199, v232
	s_wait_loadcnt 0x10
	v_lshrrev_b32_e32 v232, 16, v181
	v_lshrrev_b32_e32 v178, 16, v209
	v_fma_f16 v199, v199, v179, -v231
	v_mul_f16_e64 v231, v220, v234
	v_mul_f16_e64 v234, v200, v234
	v_fmac_f16_e64 v218, v219, v179
	s_wait_loadcnt 0xf
	v_lshrrev_b32_e32 v219, 16, v182
	v_lshrrev_b32_e32 v179, 16, v211
	v_fma_f16 v200, v200, v180, -v231
	v_mul_f16_e64 v231, v221, v232
	v_fmac_f16_e64 v234, v220, v180
	v_mul_f16_e64 v220, v201, v232
	s_wait_loadcnt 0xe
	v_lshrrev_b32_e32 v232, 16, v183
	v_lshrrev_b32_e32 v180, 16, v212
	v_fma_f16 v201, v201, v181, -v231
	v_mul_f16_e64 v231, v222, v219
	v_mul_f16_e64 v219, v202, v219
	v_fmac_f16_e64 v220, v221, v181
	s_wait_loadcnt 0xd
	v_lshrrev_b32_e32 v221, 16, v184
	s_wait_dscnt 0x3
	v_lshrrev_b32_e32 v181, 16, v214
	v_fma_f16 v202, v202, v182, -v231
	v_mul_f16_e64 v231, v223, v232
	v_fmac_f16_e64 v219, v222, v182
	s_wait_loadcnt 0xc
	v_lshrrev_b32_e32 v182, 16, v185
	v_mul_f16_e64 v222, v203, v232
	s_wait_loadcnt 0xb
	v_lshrrev_b32_e32 v232, 16, v186
	v_fma_f16 v203, v203, v183, -v231
	v_mul_f16_e64 v231, v224, v221
	v_mul_f16_e64 v221, v204, v221
	v_fmac_f16_e64 v222, v223, v183
	s_wait_loadcnt 0xa
	v_lshrrev_b32_e32 v183, 16, v187
	s_wait_loadcnt 0x9
	v_lshrrev_b32_e32 v223, 16, v188
	v_fma_f16 v204, v204, v184, -v231
	v_mul_f16_e64 v231, v225, v182
	v_mul_f16_e64 v182, v205, v182
	v_fmac_f16_e64 v221, v224, v184
	s_wait_loadcnt 0x8
	v_lshrrev_b32_e32 v184, 16, v189
	;; [unrolled: 8-line block ×4, first 2 shown]
	s_wait_loadcnt 0x3
	v_lshrrev_b32_e32 v227, 16, v194
	v_fma_f16 v208, v208, v187, -v231
	v_mul_f16_e64 v231, v229, v223
	v_mul_f16_e64 v223, v207, v223
	v_fmac_f16_e64 v183, v228, v187
	v_mul_f16_e64 v187, v230, v184
	v_mul_f16_e64 v184, v210, v184
	;; [unrolled: 1-line block ×4, first 2 shown]
	v_fma_f16 v207, v207, v188, -v231
	v_mul_f16_e64 v231, v178, v185
	v_mul_f16_e64 v185, v209, v185
	v_fmac_f16_e64 v223, v229, v188
	v_mul_f16_e64 v188, v179, v225
	v_mul_f16_e64 v225, v211, v225
	v_fma_f16 v187, v210, v189, -v187
	v_fmac_f16_e64 v184, v230, v189
	v_fma_f16 v189, v213, v190, -v228
	v_fmac_f16_e64 v224, v233, v190
	;; [unrolled: 2-line block ×4, first 2 shown]
	v_mul_f16_e64 v179, v180, v186
	v_mul_f16_e64 v186, v212, v186
	;; [unrolled: 1-line block ×4, first 2 shown]
	s_wait_dscnt 0x2
	v_lshrrev_b32_e32 v192, 16, v215
	s_wait_loadcnt 0x2
	v_lshrrev_b32_e32 v209, 16, v195
	v_fma_f16 v179, v212, v193, -v179
	v_fmac_f16_e64 v186, v180, v193
	v_fma_f16 v180, v214, v194, -v188
	v_fmac_f16_e64 v191, v181, v194
	s_wait_dscnt 0x1
	v_lshrrev_b32_e32 v188, 16, v216
	s_wait_loadcnt 0x0
	v_lshrrev_b32_e32 v193, 16, v197
	s_wait_dscnt 0x0
	v_lshrrev_b32_e32 v194, 16, v217
	v_lshrrev_b32_e32 v210, 16, v196
	v_mul_f16_e64 v181, v192, v209
	v_mul_f16_e64 v209, v215, v209
	;; [unrolled: 1-line block ×6, first 2 shown]
	v_fma_f16 v181, v215, v195, -v181
	v_fmac_f16_e64 v209, v192, v195
	v_fma_f16 v192, v216, v197, -v211
	v_fmac_f16_e64 v193, v188, v197
	;; [unrolled: 2-line block ×3, first 2 shown]
	v_pack_b32_f16 v195, v199, v218
	v_pack_b32_f16 v199, v207, v223
	;; [unrolled: 1-line block ×14, first 2 shown]
	ds_store_b32 v82, v199 offset:24000
	v_pack_b32_f16 v181, v181, v209
	ds_store_b32 v82, v195 offset:10000
	ds_store_b32 v82, v200 offset:12000
	;; [unrolled: 1-line block ×4, first 2 shown]
	v_pack_b32_f16 v183, v192, v193
	ds_store_b32 v82, v178 offset:26000
	v_pack_b32_f16 v178, v180, v191
	v_pack_b32_f16 v180, v188, v210
	;; [unrolled: 1-line block ×4, first 2 shown]
	ds_store_b32 v82, v184 offset:34000
	ds_store_b32 v82, v179 offset:36000
	;; [unrolled: 1-line block ×12, first 2 shown]
	ds_store_b32 v82, v194
	ds_store_b32 v82, v180 offset:38000
	global_wb scope:SCOPE_SE
	s_wait_dscnt 0x0
	s_barrier_signal -1
	s_barrier_wait -1
	global_inv scope:SCOPE_SE
	ds_load_b32 v178, v82 offset:10000
	ds_load_b32 v179, v82 offset:30000
	;; [unrolled: 1-line block ×3, first 2 shown]
	ds_load_b32 v181, v82
	ds_load_b32 v182, v82 offset:2000
	ds_load_b32 v183, v82 offset:32000
	;; [unrolled: 1-line block ×16, first 2 shown]
	global_wb scope:SCOPE_SE
	s_wait_dscnt 0x0
	s_barrier_signal -1
	s_barrier_wait -1
	global_inv scope:SCOPE_SE
	v_pk_add_f16 v179, v178, v179 neg_lo:[0,1] neg_hi:[0,1]
	v_pk_add_f16 v180, v181, v180 neg_lo:[0,1] neg_hi:[0,1]
	s_delay_alu instid0(VALU_DEP_2) | instskip(SKIP_1) | instid1(VALU_DEP_3)
	v_lshrrev_b32_e32 v196, 16, v179
	v_pk_add_f16 v184, v182, v184 neg_lo:[0,1] neg_hi:[0,1]
	v_lshrrev_b32_e32 v197, 16, v180
	v_pk_add_f16 v200, v186, v183 neg_lo:[0,1] neg_hi:[0,1]
	v_pk_fma_f16 v201, v181, 2.0, v180 op_sel_hi:[1,0,1] neg_lo:[0,0,1] neg_hi:[0,0,1]
	v_add_f16_e64 v196, v180, v196
	v_lshrrev_b32_e32 v202, 16, v184
	v_sub_f16_e64 v183, v197, v179
	v_pk_fma_f16 v178, v178, 2.0, v179 op_sel_hi:[1,0,1] neg_lo:[0,0,1] neg_hi:[0,0,1]
	v_lshrrev_b32_e32 v179, 16, v200
	v_fma_f16 v203, v180, 2.0, -v196
	v_sub_f16_e64 v204, v202, v200
	v_fma_f16 v197, v197, 2.0, -v183
	v_pk_add_f16 v180, v201, v178 neg_lo:[0,1] neg_hi:[0,1]
	v_add_f16_e64 v205, v184, v179
	v_pack_b32_f16 v181, v196, v183
	v_pk_add_f16 v196, v188, v185 neg_lo:[0,1] neg_hi:[0,1]
	v_pack_b32_f16 v179, v203, v197
	v_fma_f16 v183, v202, 2.0, -v204
	v_fma_f16 v197, v184, 2.0, -v205
	v_pk_fma_f16 v178, v201, 2.0, v180 op_sel_hi:[1,0,1] neg_lo:[0,0,1] neg_hi:[0,0,1]
	v_pk_add_f16 v198, v187, v198 neg_lo:[0,1] neg_hi:[0,1]
	v_lshrrev_b32_e32 v201, 16, v196
	v_pk_fma_f16 v182, v182, 2.0, v184 op_sel_hi:[1,0,1] neg_lo:[0,0,1] neg_hi:[0,0,1]
	v_pack_b32_f16 v183, v197, v183
	v_pk_fma_f16 v184, v186, 2.0, v200 op_sel_hi:[1,0,1] neg_lo:[0,0,1] neg_hi:[0,0,1]
	v_lshrrev_b32_e32 v186, 16, v198
	v_sub_f16_e64 v197, v201, v198
	v_pk_fma_f16 v187, v187, 2.0, v198 op_sel_hi:[1,0,1] neg_lo:[0,0,1] neg_hi:[0,0,1]
	v_pk_add_f16 v199, v190, v199 neg_lo:[0,1] neg_hi:[0,1]
	v_pk_add_f16 v198, v193, v189 neg_lo:[0,1] neg_hi:[0,1]
	v_add_f16_e64 v186, v196, v186
	v_fma_f16 v200, v201, 2.0, -v197
	v_pk_fma_f16 v201, v188, 2.0, v196 op_sel_hi:[1,0,1] neg_lo:[0,0,1] neg_hi:[0,0,1]
	v_pk_fma_f16 v190, v190, 2.0, v199 op_sel_hi:[1,0,1] neg_lo:[0,0,1] neg_hi:[0,0,1]
	v_pk_add_f16 v184, v182, v184 neg_lo:[0,1] neg_hi:[0,1]
	v_fma_f16 v196, v196, 2.0, -v186
	v_pack_b32_f16 v189, v186, v197
	v_pk_add_f16 v188, v201, v187 neg_lo:[0,1] neg_hi:[0,1]
	v_lshrrev_b32_e32 v186, 16, v199
	v_lshrrev_b32_e32 v197, 16, v198
	v_pack_b32_f16 v187, v196, v200
	v_pack_b32_f16 v185, v205, v204
	v_pk_fma_f16 v182, v182, 2.0, v184 op_sel_hi:[1,0,1] neg_lo:[0,0,1] neg_hi:[0,0,1]
	v_add_f16_e64 v200, v198, v186
	v_pk_fma_f16 v186, v201, 2.0, v188 op_sel_hi:[1,0,1] neg_lo:[0,0,1] neg_hi:[0,0,1]
	v_pk_add_f16 v201, v194, v192 neg_lo:[0,1] neg_hi:[0,1]
	v_pk_add_f16 v192, v191, v195 neg_lo:[0,1] neg_hi:[0,1]
	v_sub_f16_e64 v196, v197, v199
	s_delay_alu instid0(VALU_DEP_3) | instskip(NEXT) | instid1(VALU_DEP_3)
	v_lshrrev_b32_e32 v202, 16, v201
	v_lshrrev_b32_e32 v203, 16, v192
	s_delay_alu instid0(VALU_DEP_3)
	v_fma_f16 v195, v197, 2.0, -v196
	v_fma_f16 v197, v198, 2.0, -v200
	v_pk_fma_f16 v198, v193, 2.0, v198 op_sel_hi:[1,0,1] neg_lo:[0,0,1] neg_hi:[0,0,1]
	v_pack_b32_f16 v193, v200, v196
	v_pk_fma_f16 v196, v191, 2.0, v192 op_sel_hi:[1,0,1] neg_lo:[0,0,1] neg_hi:[0,0,1]
	v_sub_f16_e64 v199, v202, v192
	v_add_f16_e64 v200, v201, v203
	v_pk_fma_f16 v194, v194, 2.0, v201 op_sel_hi:[1,0,1] neg_lo:[0,0,1] neg_hi:[0,0,1]
	v_pk_add_f16 v192, v198, v190 neg_lo:[0,1] neg_hi:[0,1]
	v_pack_b32_f16 v191, v197, v195
	v_fma_f16 v195, v202, 2.0, -v199
	v_fma_f16 v201, v201, 2.0, -v200
	v_pk_add_f16 v196, v194, v196 neg_lo:[0,1] neg_hi:[0,1]
	v_pk_fma_f16 v190, v198, 2.0, v192 op_sel_hi:[1,0,1] neg_lo:[0,0,1] neg_hi:[0,0,1]
	v_pack_b32_f16 v197, v200, v199
	s_delay_alu instid0(VALU_DEP_4) | instskip(NEXT) | instid1(VALU_DEP_4)
	v_pack_b32_f16 v195, v201, v195
	v_pk_fma_f16 v194, v194, 2.0, v196 op_sel_hi:[1,0,1] neg_lo:[0,0,1] neg_hi:[0,0,1]
	ds_store_b128 v97, v[178:181]
	ds_store_b128 v98, v[182:185]
	;; [unrolled: 1-line block ×4, first 2 shown]
	ds_store_b128 v95, v[194:197] offset:32000
	global_wb scope:SCOPE_SE
	s_wait_dscnt 0x0
	s_barrier_signal -1
	s_barrier_wait -1
	global_inv scope:SCOPE_SE
	ds_load_b32 v95, v82 offset:8000
	ds_load_b32 v97, v82 offset:16000
	;; [unrolled: 1-line block ×11, first 2 shown]
	s_wait_dscnt 0x6
	v_lshrrev_b32_e32 v190, 16, v178
	v_lshrrev_b32_e32 v100, 16, v95
	v_mul_f16_e64 v186, v119, v95
	v_lshrrev_b32_e32 v184, 16, v97
	v_lshrrev_b32_e32 v188, 16, v98
	s_wait_dscnt 0x5
	v_lshrrev_b32_e32 v193, 16, v179
	v_mul_f16_e64 v185, v119, v100
	s_wait_dscnt 0x4
	v_lshrrev_b32_e32 v195, 16, v180
	v_mul_f16_e64 v187, v118, v184
	v_mul_f16_e64 v196, v118, v180
	;; [unrolled: 1-line block ×3, first 2 shown]
	v_fmac_f16_e64 v185, v0, v95
	v_fma_f16 v95, v0, v100, -v186
	v_mul_f16_e32 v100, v118, v97
	v_fmac_f16_e64 v187, v1, v97
	v_mul_f16_e64 v97, v117, v188
	v_mul_f16_e64 v186, v117, v98
	v_fmac_f16_e64 v194, v0, v179
	v_fma_f16 v100, v1, v184, -v100
	ds_load_b32 v184, v82 offset:30000
	ds_load_b32 v191, v82 offset:34000
	;; [unrolled: 1-line block ×3, first 2 shown]
	v_fmac_f16_e32 v97, v2, v98
	v_mul_f16_e64 v98, v116, v190
	v_fma_f16 v186, v2, v188, -v186
	v_mul_f16_e64 v188, v116, v178
	s_wait_dscnt 0x6
	v_mul_f16_e64 v206, v118, v181
	v_sub_f16_e64 v212, v187, v97
	v_fmac_f16_e64 v98, v3, v178
	v_mul_f16_e64 v178, v119, v179
	v_fma_f16 v188, v3, v190, -v188
	ds_load_b32 v190, v82 offset:28000
	v_mul_f16_e64 v179, v118, v195
	ds_load_b32 v197, v82 offset:36000
	ds_load_b32 v198, v82 offset:38000
	ds_load_b32 v199, v82
	ds_load_b32 v200, v82 offset:2000
	ds_load_b32 v201, v82 offset:4000
	v_fma_f16 v178, v0, v193, -v178
	s_wait_dscnt 0x9
	v_lshrrev_b32_e32 v193, 16, v189
	v_fma_f16 v195, v1, v195, -v196
	v_fmac_f16_e64 v179, v1, v180
	v_mul_f16_e64 v196, v117, v189
	v_sub_f16_e64 v210, v185, v98
	s_wait_dscnt 0x7
	v_lshrrev_b32_e32 v202, 16, v191
	v_mul_f16_e64 v180, v117, v193
	s_wait_dscnt 0x6
	v_lshrrev_b32_e32 v204, 16, v192
	v_fma_f16 v193, v2, v193, -v196
	v_lshrrev_b32_e32 v196, 16, v181
	v_mul_f16_e64 v203, v116, v202
	v_fmac_f16_e64 v180, v2, v189
	v_mul_f16_e64 v189, v116, v191
	v_lshrrev_b32_e32 v209, 16, v184
	s_wait_dscnt 0x4
	v_lshrrev_b32_e32 v207, 16, v197
	v_fmac_f16_e64 v203, v3, v191
	v_mul_f16_e64 v191, v119, v204
	v_fma_f16 v189, v3, v202, -v189
	v_mul_f16_e64 v202, v119, v192
	v_lshrrev_b32_e32 v205, 16, v190
	v_mul_f16_e64 v208, v116, v197
	v_fmac_f16_e64 v191, v0, v192
	v_mul_f16_e64 v192, v118, v196
	v_fma_f16 v202, v0, v204, -v202
	v_mul_f16_e64 v204, v117, v205
	v_sub_f16_e64 v211, v100, v186
	global_wb scope:SCOPE_SE
	s_wait_dscnt 0x0
	v_fmac_f16_e64 v192, v1, v181
	v_fma_f16 v181, v1, v196, -v206
	v_mul_f16_e64 v196, v117, v190
	v_fmac_f16_e64 v204, v2, v190
	v_mul_f16_e64 v190, v116, v207
	v_lshrrev_b32_e32 v206, 16, v183
	v_fma_f16 v207, v3, v207, -v208
	v_fma_f16 v196, v2, v205, -v196
	v_lshrrev_b32_e32 v205, 16, v182
	v_fmac_f16_e64 v190, v3, v197
	v_mul_f16_e64 v197, v119, v206
	v_mul_f16_e64 v119, v119, v183
	s_barrier_signal -1
	v_mul_f16_e64 v208, v118, v205
	v_mul_f16_e64 v118, v118, v182
	v_fmac_f16_e64 v197, v0, v183
	v_fma_f16 v0, v0, v206, -v119
	v_mul_f16_e64 v119, v117, v209
	v_fmac_f16_e64 v208, v1, v182
	v_mul_f16_e64 v117, v117, v184
	v_fma_f16 v1, v1, v205, -v118
	v_lshrrev_b32_e32 v118, 16, v199
	v_lshrrev_b32_e32 v182, 16, v198
	v_fmac_f16_e64 v119, v2, v184
	v_fma_f16 v2, v2, v209, -v117
	v_add_f16_e64 v117, v199, v185
	v_add_f16_e64 v183, v118, v95
	v_mul_f16_e64 v184, v116, v182
	v_mul_f16_e64 v116, v116, v198
	v_sub_f16_e64 v205, v185, v187
	v_add_f16_e64 v117, v117, v187
	v_add_f16_e64 v183, v183, v100
	v_fmac_f16_e64 v184, v3, v198
	v_fma_f16 v3, v3, v182, -v116
	v_sub_f16_e64 v206, v98, v97
	v_add_f16_e32 v116, v117, v97
	v_add_f16_e64 v117, v183, v186
	v_add_f16_e64 v183, v187, v97
	v_sub_f16_e32 v97, v97, v98
	v_add_f16_e64 v182, v205, v206
	v_add_f16_e32 v116, v116, v98
	v_add_f16_e64 v117, v117, v188
	v_add_f16_e64 v206, v100, v186
	v_sub_f16_e64 v198, v95, v100
	v_sub_f16_e64 v205, v188, v186
	v_fma_f16 v183, -0.5, v183, v199
	v_pack_b32_f16 v116, v116, v117
	v_sub_f16_e64 v117, v187, v185
	v_add_f16_e64 v185, v185, v98
	v_add_f16_e64 v98, v95, v188
	v_sub_f16_e64 v209, v95, v188
	v_fma_f16 v206, -0.5, v206, v118
	v_add_f16_e64 v198, v198, v205
	v_fmac_f16_e64 v199, -0.5, v185
	v_fmac_f16_e32 v118, -0.5, v98
	v_fma_f16 v205, 0xbb9c, v209, v183
	v_fma_f16 v213, 0x3b9c, v210, v206
	v_add_f16_e32 v97, v117, v97
	v_sub_f16_e32 v95, v100, v95
	v_fma_f16 v98, 0x3b9c, v211, v199
	v_sub_f16_e64 v100, v186, v188
	v_fma_f16 v117, 0xbb9c, v212, v118
	v_fmac_f16_e64 v199, 0xbb9c, v211
	v_fmac_f16_e64 v118, 0x3b9c, v212
	v_fmac_f16_e64 v205, 0xb8b4, v211
	v_fmac_f16_e64 v213, 0x38b4, v212
	v_fmac_f16_e64 v98, 0xb8b4, v209
	v_add_f16_e32 v95, v95, v100
	v_fmac_f16_e64 v117, 0x38b4, v210
	v_fmac_f16_e64 v199, 0x38b4, v209
	v_fmac_f16_e64 v118, 0xb8b4, v210
	v_fmac_f16_e64 v205, 0x34f2, v182
	v_fmac_f16_e64 v213, 0x34f2, v198
	v_fmac_f16_e32 v98, 0x34f2, v97
	v_fmac_f16_e32 v117, 0x34f2, v95
	v_fmac_f16_e64 v183, 0x3b9c, v209
	v_fmac_f16_e64 v199, 0x34f2, v97
	v_fmac_f16_e32 v118, 0x34f2, v95
	v_pack_b32_f16 v100, v205, v213
	v_fmac_f16_e64 v206, 0xbb9c, v210
	v_fmac_f16_e64 v183, 0x38b4, v211
	v_pack_b32_f16 v95, v98, v117
	v_lshrrev_b32_e32 v98, 16, v200
	v_pack_b32_f16 v97, v199, v118
	s_barrier_wait -1
	global_inv scope:SCOPE_SE
	v_fmac_f16_e64 v206, 0xb8b4, v212
	v_fmac_f16_e64 v183, 0x34f2, v182
	ds_store_2addr_b32 v102, v116, v100 offset1:4
	ds_store_2addr_b32 v102, v95, v97 offset0:8 offset1:12
	v_add_f16_e64 v95, v200, v194
	v_add_f16_e64 v97, v98, v178
	v_sub_f16_e64 v182, v178, v195
	v_sub_f16_e64 v185, v189, v193
	v_fmac_f16_e64 v206, 0x34f2, v198
	v_sub_f16_e64 v116, v194, v179
	v_sub_f16_e64 v117, v203, v180
	v_add_f16_e64 v95, v95, v179
	v_add_f16_e64 v97, v97, v195
	v_add_f16_e64 v118, v179, v180
	v_add_f16_e64 v182, v182, v185
	v_add_f16_e64 v185, v194, v203
	v_pack_b32_f16 v100, v183, v206
	v_add_f16_e64 v183, v195, v193
	v_add_f16_e32 v116, v116, v117
	v_fma_f16 v117, -0.5, v118, v200
	v_add_f16_e64 v95, v95, v180
	v_add_f16_e64 v97, v97, v193
	v_fmac_f16_e64 v200, -0.5, v185
	v_add_f16_e64 v185, v178, v189
	v_sub_f16_e64 v118, v178, v189
	v_fma_f16 v183, -0.5, v183, v98
	v_sub_f16_e64 v186, v194, v203
	v_sub_f16_e64 v188, v195, v193
	;; [unrolled: 1-line block ×3, first 2 shown]
	v_add_f16_e64 v95, v95, v203
	v_add_f16_e64 v97, v97, v189
	v_sub_f16_e64 v179, v179, v194
	v_sub_f16_e64 v180, v180, v203
	v_fmac_f16_e64 v98, -0.5, v185
	v_fma_f16 v187, 0xbb9c, v118, v117
	v_fma_f16 v198, 0x3b9c, v186, v183
	v_pack_b32_f16 v95, v95, v97
	v_fma_f16 v97, 0x3b9c, v188, v200
	v_add_f16_e64 v179, v179, v180
	v_fmac_f16_e64 v200, 0xbb9c, v188
	v_sub_f16_e64 v178, v195, v178
	v_sub_f16_e64 v180, v193, v189
	v_fma_f16 v185, 0xbb9c, v199, v98
	v_fmac_f16_e64 v98, 0x3b9c, v199
	v_fmac_f16_e64 v187, 0xb8b4, v188
	;; [unrolled: 1-line block ×3, first 2 shown]
	v_fmac_f16_e32 v97, 0xb8b4, v118
	v_fmac_f16_e64 v200, 0x38b4, v118
	v_fmac_f16_e32 v117, 0x3b9c, v118
	v_fmac_f16_e64 v183, 0xbb9c, v186
	v_add_f16_e64 v118, v178, v180
	v_fmac_f16_e64 v185, 0x38b4, v186
	v_fmac_f16_e64 v98, 0xb8b4, v186
	;; [unrolled: 1-line block ×9, first 2 shown]
	v_fmac_f16_e32 v98, 0x34f2, v118
	v_pack_b32_f16 v187, v187, v198
	v_fmac_f16_e32 v117, 0x34f2, v116
	v_fmac_f16_e64 v183, 0x34f2, v182
	v_pack_b32_f16 v97, v97, v185
	v_pack_b32_f16 v98, v200, v98
	ds_store_b32 v102, v100 offset:64
	ds_store_2addr_b32 v101, v95, v187 offset1:4
	v_pack_b32_f16 v95, v117, v183
	v_sub_f16_e64 v100, v191, v192
	v_sub_f16_e64 v102, v190, v204
	ds_store_2addr_b32 v101, v97, v98 offset0:8 offset1:12
	v_sub_f16_e64 v97, v202, v181
	v_sub_f16_e64 v98, v207, v196
	ds_store_b32 v101, v95 offset:64
	v_add_f16_e32 v95, v100, v102
	v_lshrrev_b32_e32 v100, 16, v201
	v_add_f16_e64 v101, v192, v204
	v_add_f16_e32 v97, v97, v98
	v_add_f16_e64 v98, v181, v196
	v_add_f16_e64 v102, v201, v191
	v_add_f16_e64 v116, v100, v202
	v_fma_f16 v101, -0.5, v101, v201
	v_sub_f16_e64 v117, v202, v207
	v_fma_f16 v98, -0.5, v98, v100
	v_sub_f16_e64 v118, v191, v190
	v_add_f16_e64 v102, v102, v192
	v_add_f16_e64 v116, v116, v181
	v_fma_f16 v178, 0xbb9c, v117, v101
	v_sub_f16_e64 v179, v181, v196
	v_fma_f16 v180, 0x3b9c, v118, v98
	v_sub_f16_e64 v182, v192, v204
	v_add_f16_e64 v102, v102, v204
	v_add_f16_e64 v116, v116, v196
	v_fmac_f16_e64 v178, 0xb8b4, v179
	v_add_f16_e64 v183, v191, v190
	v_fmac_f16_e64 v180, 0x38b4, v182
	v_add_f16_e64 v186, v202, v207
	v_add_f16_e64 v102, v102, v190
	;; [unrolled: 1-line block ×3, first 2 shown]
	v_fmac_f16_e64 v178, 0x34f2, v95
	v_fmac_f16_e64 v201, -0.5, v183
	v_fmac_f16_e64 v180, 0x34f2, v97
	v_sub_f16_e64 v183, v192, v191
	v_sub_f16_e64 v185, v204, v190
	v_fmac_f16_e64 v100, -0.5, v186
	v_pack_b32_f16 v102, v102, v116
	v_fma_f16 v116, 0x3b9c, v179, v201
	v_pack_b32_f16 v178, v178, v180
	v_add_f16_e64 v180, v183, v185
	v_fmac_f16_e64 v201, 0xbb9c, v179
	v_sub_f16_e64 v181, v181, v202
	v_sub_f16_e64 v183, v196, v207
	v_fma_f16 v185, 0xbb9c, v182, v100
	v_fmac_f16_e64 v100, 0x3b9c, v182
	v_fmac_f16_e64 v201, 0x38b4, v117
	v_fmac_f16_e32 v101, 0x3b9c, v117
	v_add_f16_e64 v181, v181, v183
	v_fmac_f16_e32 v98, 0xbb9c, v118
	v_fmac_f16_e32 v100, 0xb8b4, v118
	;; [unrolled: 1-line block ×3, first 2 shown]
	v_fmac_f16_e64 v185, 0x38b4, v118
	v_fmac_f16_e64 v201, 0x34f2, v180
	;; [unrolled: 1-line block ×7, first 2 shown]
	ds_store_2addr_b32 v96, v102, v178 offset1:4
	v_fmac_f16_e32 v101, 0x34f2, v95
	v_fmac_f16_e32 v98, 0x34f2, v97
	v_pack_b32_f16 v97, v201, v100
	v_sub_f16_e64 v100, v197, v208
	v_sub_f16_e64 v102, v184, v119
	v_pack_b32_f16 v95, v116, v185
	v_sub_f16_e32 v116, v0, v1
	v_sub_f16_e32 v117, v3, v2
	v_pack_b32_f16 v98, v101, v98
	v_lshrrev_b32_e32 v101, 16, v99
	v_add_f16_e32 v100, v100, v102
	v_add_f16_e64 v102, v99, v197
	v_add_f16_e64 v178, v208, v119
	v_add_f16_e32 v116, v116, v117
	v_add_f16_e32 v117, v1, v2
	;; [unrolled: 1-line block ×3, first 2 shown]
	v_add_f16_e64 v102, v102, v208
	v_add_f16_e64 v185, v197, v184
	;; [unrolled: 1-line block ×3, first 2 shown]
	v_fma_f16 v178, -0.5, v178, v99
	v_sub_f16_e64 v179, v0, v3
	v_fma_f16 v117, -0.5, v117, v101
	v_sub_f16_e64 v180, v197, v184
	v_add_f16_e32 v118, v118, v1
	v_add_f16_e32 v102, v102, v119
	v_sub_f16_e64 v182, v1, v2
	v_sub_f16_e64 v186, v208, v119
	v_fmac_f16_e64 v99, -0.5, v185
	v_fmac_f16_e64 v101, -0.5, v187
	v_fma_f16 v181, 0xbb9c, v179, v178
	v_fma_f16 v183, 0x3b9c, v180, v117
	v_add_f16_e32 v118, v118, v2
	v_add_f16_e64 v102, v102, v184
	v_sub_f16_e64 v185, v208, v197
	v_sub_f16_e64 v119, v119, v184
	v_fma_f16 v184, 0x3b9c, v182, v99
	v_fmac_f16_e64 v99, 0xbb9c, v182
	v_sub_f16_e32 v0, v1, v0
	v_sub_f16_e32 v1, v2, v3
	v_fma_f16 v2, 0xbb9c, v186, v101
	v_fmac_f16_e64 v101, 0x3b9c, v186
	v_fmac_f16_e64 v178, 0x3b9c, v179
	;; [unrolled: 1-line block ×5, first 2 shown]
	v_add_f16_e64 v119, v185, v119
	v_fmac_f16_e64 v184, 0xb8b4, v179
	v_fmac_f16_e64 v99, 0x38b4, v179
	v_add_f16_e32 v0, v0, v1
	v_fmac_f16_e64 v2, 0x38b4, v180
	v_fmac_f16_e64 v101, 0xb8b4, v180
	;; [unrolled: 1-line block ×4, first 2 shown]
	v_add_f16_e32 v118, v118, v3
	v_fmac_f16_e64 v181, 0x34f2, v100
	v_fmac_f16_e64 v183, 0x34f2, v116
	;; [unrolled: 1-line block ×3, first 2 shown]
	v_fmac_f16_e32 v99, 0x34f2, v119
	v_fmac_f16_e32 v2, 0x34f2, v0
	;; [unrolled: 1-line block ×3, first 2 shown]
	v_fmac_f16_e64 v178, 0x34f2, v100
	v_fmac_f16_e32 v117, 0x34f2, v116
	v_pack_b32_f16 v0, v102, v118
	v_pack_b32_f16 v1, v181, v183
	;; [unrolled: 1-line block ×5, first 2 shown]
	ds_store_2addr_b32 v96, v95, v97 offset0:8 offset1:12
	ds_store_b32 v96, v98 offset:64
	ds_store_2addr_b32 v108, v0, v1 offset1:4
	ds_store_2addr_b32 v108, v2, v3 offset0:8 offset1:12
	ds_store_b32 v108, v99 offset:64
	global_wb scope:SCOPE_SE
	s_wait_dscnt 0x0
	s_barrier_signal -1
	s_barrier_wait -1
	global_inv scope:SCOPE_SE
	ds_load_b32 v1, v82 offset:8000
	ds_load_b32 v2, v82 offset:16000
	;; [unrolled: 1-line block ×5, first 2 shown]
	s_wait_dscnt 0x4
	v_lshrrev_b32_e32 v96, 16, v1
	v_mul_f16_e64 v97, v177, v1
	s_wait_dscnt 0x3
	v_lshrrev_b32_e32 v99, 16, v2
	s_wait_dscnt 0x2
	v_lshrrev_b32_e32 v108, 16, v3
	v_mul_f16_e64 v95, v177, v96
	ds_load_b32 v101, v82 offset:10000
	ds_load_b32 v102, v82 offset:18000
	;; [unrolled: 1-line block ×5, first 2 shown]
	v_fma_f16 v96, v16, v96, -v97
	v_mul_f16_e64 v98, v176, v99
	v_mul_f16_e64 v97, v175, v108
	v_fmac_f16_e32 v95, v16, v1
	v_mul_f16_e64 v1, v176, v2
	ds_load_b32 v176, v82 offset:26000
	v_mul_f16_e64 v16, v175, v3
	v_fmac_f16_e32 v97, v18, v3
	v_fmac_f16_e32 v98, v17, v2
	v_fma_f16 v99, v17, v99, -v1
	s_wait_dscnt 0x6
	v_lshrrev_b32_e32 v1, 16, v100
	ds_load_b32 v175, v82 offset:30000
	v_fma_f16 v108, v18, v108, -v16
	v_mul_f16_e64 v16, v174, v100
	ds_load_b32 v178, v82 offset:34000
	s_wait_dscnt 0x7
	v_lshrrev_b32_e32 v3, 16, v101
	v_mul_f16_e64 v117, v174, v1
	s_wait_dscnt 0x6
	v_lshrrev_b32_e32 v174, 16, v102
	v_fma_f16 v116, v19, v1, -v16
	v_mul_f16_e64 v17, v173, v3
	v_fmac_f16_e32 v117, v19, v100
	v_mul_f16_e64 v100, v173, v101
	ds_load_b32 v173, v82 offset:28000
	ds_load_b32 v2, v82 offset:12000
	s_wait_dscnt 0x4
	v_lshrrev_b32_e32 v19, 16, v176
	v_mul_f16_e64 v18, v172, v174
	v_fma_f16 v16, v12, v3, -v100
	v_mul_f16_e64 v3, v172, v102
	v_fmac_f16_e32 v17, v12, v101
	ds_load_b32 v1, v82 offset:4000
	ds_load_b32 v172, v82 offset:36000
	;; [unrolled: 1-line block ×4, first 2 shown]
	ds_load_b32 v180, v82
	v_mul_f16_e64 v181, v171, v19
	v_mul_f16_e64 v101, v171, v176
	v_fma_f16 v171, v13, v174, -v3
	v_fmac_f16_e32 v18, v13, v102
	s_wait_dscnt 0x7
	v_lshrrev_b32_e32 v100, 16, v178
	v_fmac_f16_e64 v181, v14, v176
	v_fma_f16 v176, v14, v19, -v101
	v_mul_f16_e64 v13, v170, v178
	v_lshrrev_b32_e32 v14, 16, v118
	v_mul_f16_e64 v174, v170, v100
	v_sub_f16_e64 v170, v96, v116
	global_wb scope:SCOPE_SE
	s_wait_dscnt 0x0
	s_barrier_signal -1
	v_lshrrev_b32_e32 v3, 16, v2
	v_mul_f16_e64 v101, v169, v2
	v_fmac_f16_e64 v174, v15, v178
	v_sub_f16_e64 v178, v98, v97
	s_barrier_wait -1
	v_mul_f16_e64 v19, v169, v3
	v_fma_f16 v169, v15, v100, -v13
	v_mul_f16_e64 v100, v168, v14
	v_fma_f16 v13, v8, v3, -v101
	v_mul_f16_e64 v3, v168, v118
	v_fmac_f16_e32 v19, v8, v2
	v_lshrrev_b32_e32 v2, 16, v173
	v_lshrrev_b32_e32 v168, 16, v172
	v_fmac_f16_e32 v100, v9, v118
	v_mul_f16_e64 v8, v167, v173
	v_lshrrev_b32_e32 v118, 16, v119
	v_mul_f16_e64 v101, v167, v2
	v_fma_f16 v14, v9, v14, -v3
	v_mul_f16_e64 v102, v166, v168
	v_lshrrev_b32_e32 v3, 16, v177
	v_fma_f16 v15, v10, v2, -v8
	v_fmac_f16_e64 v101, v10, v173
	v_mul_f16_e64 v2, v166, v172
	v_mul_f16_e64 v10, v165, v177
	;; [unrolled: 1-line block ×3, first 2 shown]
	v_fmac_f16_e64 v102, v11, v172
	v_mul_f16_e64 v8, v165, v3
	v_fma_f16 v11, v11, v168, -v2
	v_lshrrev_b32_e32 v165, 16, v175
	v_fma_f16 v2, v4, v3, -v10
	v_mul_f16_e64 v3, v164, v119
	v_fmac_f16_e32 v9, v5, v119
	v_lshrrev_b32_e32 v119, 16, v179
	v_fmac_f16_e64 v8, v4, v177
	v_mul_f16_e64 v10, v163, v165
	v_mul_f16_e64 v4, v163, v175
	v_sub_f16_e64 v163, v95, v98
	v_sub_f16_e64 v164, v117, v97
	v_fma_f16 v3, v5, v118, -v3
	v_mul_f16_e64 v5, v130, v119
	v_add_f16_e64 v167, v180, v95
	v_mul_f16_e64 v130, v130, v179
	v_fmac_f16_e64 v10, v6, v175
	v_fma_f16 v4, v6, v165, -v4
	v_add_f16_e64 v6, v163, v164
	v_sub_f16_e32 v118, v96, v99
	v_lshrrev_b32_e32 v163, 16, v180
	v_add_f16_e64 v164, v98, v97
	v_sub_f16_e64 v165, v116, v108
	v_add_f16_e64 v166, v99, v108
	v_sub_f16_e64 v172, v95, v117
	v_add_f16_e64 v167, v167, v98
	v_fmac_f16_e64 v5, v7, v179
	v_fma_f16 v7, v7, v119, -v130
	v_add_f16_e64 v130, v95, v117
	v_sub_f16_e32 v95, v98, v95
	v_add_f16_e32 v98, v96, v116
	v_add_f16_e64 v168, v163, v96
	v_fma_f16 v164, -0.5, v164, v180
	v_fma_f16 v166, -0.5, v166, v163
	v_sub_f16_e64 v175, v99, v108
	v_add_f16_e64 v118, v118, v165
	v_add_f16_e64 v165, v167, v97
	v_fmac_f16_e64 v180, -0.5, v130
	v_sub_f16_e32 v97, v97, v117
	v_fmac_f16_e64 v163, -0.5, v98
	v_sub_f16_e32 v96, v99, v96
	v_add_f16_e64 v165, v165, v117
	v_fma_f16 v117, 0x3b9c, v175, v180
	v_add_f16_e32 v95, v95, v97
	v_fmac_f16_e64 v180, 0xbb9c, v175
	v_sub_f16_e32 v97, v108, v116
	v_fma_f16 v98, 0xbb9c, v178, v163
	v_fmac_f16_e64 v163, 0x3b9c, v178
	v_fmac_f16_e64 v117, 0xb8b4, v170
	;; [unrolled: 1-line block ×3, first 2 shown]
	v_add_f16_e32 v96, v96, v97
	v_fmac_f16_e64 v98, 0x38b4, v172
	v_fmac_f16_e64 v163, 0xb8b4, v172
	v_fma_f16 v173, 0xbb9c, v170, v164
	v_fmac_f16_e32 v117, 0x34f2, v95
	v_fmac_f16_e64 v164, 0x3b9c, v170
	v_fmac_f16_e64 v180, 0x34f2, v95
	v_fmac_f16_e32 v98, 0x34f2, v96
	v_fmac_f16_e64 v163, 0x34f2, v96
	v_add_f16_e64 v168, v168, v99
	v_fma_f16 v177, 0x3b9c, v172, v166
	v_fmac_f16_e64 v173, 0xb8b4, v175
	v_fmac_f16_e64 v164, 0x38b4, v175
	v_pack_b32_f16 v95, v117, v98
	v_pack_b32_f16 v96, v180, v163
	v_add_f16_e64 v167, v168, v108
	v_fmac_f16_e64 v177, 0x38b4, v178
	v_fmac_f16_e64 v173, 0x34f2, v6
	global_inv scope:SCOPE_SE
	v_fmac_f16_e64 v166, 0xbb9c, v172
	v_fmac_f16_e64 v164, 0x34f2, v6
	v_sub_f16_e32 v6, v17, v18
	v_sub_f16_e64 v97, v174, v181
	ds_store_2addr_b32 v109, v95, v96 offset0:40 offset1:60
	v_sub_f16_e64 v95, v16, v171
	v_sub_f16_e64 v96, v169, v176
	v_add_f16_e64 v167, v167, v116
	v_fmac_f16_e64 v177, 0x34f2, v118
	v_fmac_f16_e64 v166, 0xb8b4, v178
	v_add_f16_e32 v6, v6, v97
	v_lshrrev_b32_e32 v97, 16, v12
	v_add_f16_e64 v99, v18, v181
	v_add_f16_e32 v95, v95, v96
	v_add_f16_e64 v96, v171, v176
	v_pack_b32_f16 v119, v165, v167
	v_pack_b32_f16 v165, v173, v177
	v_fmac_f16_e64 v166, 0x34f2, v118
	v_add_f16_e32 v108, v12, v17
	v_add_f16_e32 v116, v97, v16
	v_fma_f16 v99, -0.5, v99, v12
	v_sub_f16_e64 v117, v16, v169
	v_fma_f16 v96, -0.5, v96, v97
	v_sub_f16_e64 v118, v17, v174
	ds_store_2addr_b32 v109, v119, v165 offset1:20
	v_pack_b32_f16 v98, v164, v166
	v_add_f16_e32 v108, v108, v18
	v_add_f16_e64 v116, v116, v171
	v_fmamk_f16 v119, v117, 0xbb9c, v99
	v_sub_f16_e64 v130, v171, v176
	v_fma_f16 v163, 0x3b9c, v118, v96
	v_sub_f16_e64 v164, v18, v181
	v_add_f16_e64 v165, v17, v174
	v_add_f16_e64 v108, v108, v181
	;; [unrolled: 1-line block ×3, first 2 shown]
	v_fmac_f16_e64 v119, 0xb8b4, v130
	v_fmac_f16_e64 v163, 0x38b4, v164
	v_fmac_f16_e64 v12, -0.5, v165
	v_add_f16_e64 v165, v16, v169
	v_add_f16_e64 v108, v108, v174
	;; [unrolled: 1-line block ×3, first 2 shown]
	v_fmac_f16_e32 v119, 0x34f2, v6
	v_fmac_f16_e64 v163, 0x34f2, v95
	v_sub_f16_e32 v17, v18, v17
	v_sub_f16_e64 v18, v181, v174
	v_fmac_f16_e64 v97, -0.5, v165
	v_fmac_f16_e32 v99, 0x3b9c, v117
	v_fmac_f16_e32 v96, 0xbb9c, v118
	v_pack_b32_f16 v108, v108, v116
	v_fma_f16 v116, 0x3b9c, v130, v12
	v_pack_b32_f16 v119, v119, v163
	v_add_f16_e32 v17, v17, v18
	v_fmac_f16_e64 v12, 0xbb9c, v130
	v_sub_f16_e64 v16, v171, v16
	v_sub_f16_e64 v18, v176, v169
	v_fma_f16 v163, 0xbb9c, v164, v97
	v_fmac_f16_e64 v97, 0x3b9c, v164
	v_fmac_f16_e64 v99, 0x38b4, v130
	;; [unrolled: 1-line block ×3, first 2 shown]
	v_fmac_f16_e32 v116, 0xb8b4, v117
	v_fmac_f16_e32 v12, 0x38b4, v117
	v_add_f16_e32 v16, v16, v18
	v_fmac_f16_e64 v163, 0x38b4, v118
	v_fmac_f16_e32 v97, 0xb8b4, v118
	v_fmac_f16_e32 v99, 0x34f2, v6
	v_fmac_f16_e32 v96, 0x34f2, v95
	v_fmac_f16_e32 v116, 0x34f2, v17
	v_fmac_f16_e32 v12, 0x34f2, v17
	v_fmac_f16_e64 v163, 0x34f2, v16
	v_fmac_f16_e32 v97, 0x34f2, v16
	v_pack_b32_f16 v16, v99, v96
	v_sub_f16_e32 v17, v19, v100
	v_sub_f16_e32 v18, v102, v101
	ds_store_b32 v109, v98 offset:320
	v_pack_b32_f16 v6, v116, v163
	v_pack_b32_f16 v12, v12, v97
	ds_store_b32 v126, v16 offset:320
	v_add_f16_e32 v16, v17, v18
	v_lshrrev_b32_e32 v17, 16, v1
	v_add_f16_e32 v95, v1, v19
	ds_store_2addr_b32 v126, v6, v12 offset0:40 offset1:60
	v_sub_f16_e32 v6, v13, v14
	v_sub_f16_e32 v12, v11, v15
	v_add_f16_e32 v96, v17, v13
	v_add_f16_e32 v95, v95, v100
	;; [unrolled: 1-line block ×3, first 2 shown]
	v_sub_f16_e32 v98, v19, v102
	v_add_f16_e32 v6, v6, v12
	v_add_f16_e32 v12, v14, v15
	v_add_f16_e32 v96, v96, v14
	v_sub_f16_e32 v116, v100, v101
	v_add_f16_e32 v95, v95, v101
	v_add_f16_e32 v117, v19, v102
	v_sub_f16_e32 v19, v100, v19
	v_sub_f16_e32 v100, v101, v102
	v_add_f16_e32 v101, v13, v11
	v_fma_f16 v12, -0.5, v12, v17
	v_add_f16_e32 v96, v96, v15
	ds_store_2addr_b32 v126, v108, v119 offset1:20
	v_sub_f16_e32 v97, v13, v11
	v_fmac_f16_e32 v17, -0.5, v101
	v_sub_f16_e32 v108, v14, v15
	v_add_f16_e32 v96, v96, v11
	v_sub_f16_e32 v13, v14, v13
	v_sub_f16_e32 v11, v15, v11
	v_fmamk_f16 v14, v116, 0xbb9c, v17
	v_fmac_f16_e32 v17, 0x3b9c, v116
	v_fma_f16 v18, -0.5, v18, v1
	v_add_f16_e32 v95, v95, v102
	v_fmac_f16_e32 v1, -0.5, v117
	v_add_f16_e32 v11, v13, v11
	v_fmac_f16_e32 v14, 0x38b4, v98
	v_fmac_f16_e32 v17, 0xb8b4, v98
	v_fmamk_f16 v99, v97, 0xbb9c, v18
	v_fmamk_f16 v109, v98, 0x3b9c, v12
	v_pack_b32_f16 v95, v95, v96
	v_fmamk_f16 v96, v108, 0x3b9c, v1
	v_fmac_f16_e32 v14, 0x34f2, v11
	v_fmac_f16_e32 v17, 0x34f2, v11
	v_sub_f16_e32 v11, v8, v9
	v_sub_f16_e32 v13, v5, v10
	v_fmac_f16_e32 v18, 0x3b9c, v97
	v_fmac_f16_e32 v12, 0xbb9c, v98
	;; [unrolled: 1-line block ×4, first 2 shown]
	v_add_f16_e32 v19, v19, v100
	v_fmac_f16_e32 v1, 0xbb9c, v108
	v_fmac_f16_e32 v96, 0xb8b4, v97
	v_add_f16_e32 v11, v11, v13
	v_add_f16_e32 v13, v0, v8
	v_fmac_f16_e32 v18, 0x38b4, v108
	v_fmac_f16_e32 v12, 0xb8b4, v116
	;; [unrolled: 1-line block ×6, first 2 shown]
	v_add_f16_e32 v13, v13, v9
	v_fmac_f16_e32 v18, 0x34f2, v16
	v_fmac_f16_e32 v12, 0x34f2, v6
	v_sub_f16_e32 v15, v2, v3
	v_sub_f16_e32 v16, v7, v4
	v_pack_b32_f16 v99, v99, v109
	v_fmac_f16_e32 v1, 0x34f2, v19
	v_pack_b32_f16 v6, v96, v14
	v_lshrrev_b32_e32 v14, 16, v0
	v_add_f16_e32 v13, v13, v10
	v_pack_b32_f16 v12, v18, v12
	v_add_f16_e32 v18, v9, v10
	v_add_f16_e32 v15, v15, v16
	;; [unrolled: 1-line block ×3, first 2 shown]
	ds_store_2addr_b32 v115, v95, v99 offset1:20
	v_pack_b32_f16 v1, v1, v17
	v_add_f16_e32 v17, v14, v2
	v_sub_f16_e32 v95, v8, v5
	v_add_f16_e32 v99, v8, v5
	v_sub_f16_e32 v100, v9, v10
	;; [unrolled: 2-line block ×3, first 2 shown]
	v_add_f16_e32 v10, v2, v7
	v_fma_f16 v18, -0.5, v18, v0
	v_sub_f16_e32 v19, v2, v7
	v_fma_f16 v16, -0.5, v16, v14
	v_add_f16_e32 v17, v17, v3
	v_sub_f16_e32 v97, v3, v4
	v_fmac_f16_e32 v0, -0.5, v99
	v_fmac_f16_e32 v14, -0.5, v10
	v_fmamk_f16 v96, v19, 0xbb9c, v18
	v_fmamk_f16 v98, v95, 0x3b9c, v16
	v_add_f16_e32 v17, v17, v4
	v_sub_f16_e32 v8, v9, v8
	v_fmamk_f16 v9, v97, 0x3b9c, v0
	v_fmac_f16_e32 v0, 0xbb9c, v97
	v_sub_f16_e32 v2, v3, v2
	v_sub_f16_e32 v3, v4, v7
	v_fmamk_f16 v4, v100, 0xbb9c, v14
	v_fmac_f16_e32 v14, 0x3b9c, v100
	v_fmac_f16_e32 v18, 0x3b9c, v19
	v_fmac_f16_e32 v16, 0xbb9c, v95
	v_fmac_f16_e32 v96, 0xb8b4, v97
	v_fmac_f16_e32 v98, 0x38b4, v100
	v_add_f16_e32 v5, v8, v5
	v_fmac_f16_e32 v9, 0xb8b4, v19
	v_fmac_f16_e32 v0, 0x38b4, v19
	v_add_f16_e32 v2, v2, v3
	v_fmac_f16_e32 v4, 0x38b4, v95
	v_fmac_f16_e32 v14, 0xb8b4, v95
	;; [unrolled: 1-line block ×4, first 2 shown]
	v_add_f16_e32 v17, v17, v7
	v_fmac_f16_e32 v96, 0x34f2, v11
	v_fmac_f16_e32 v98, 0x34f2, v15
	;; [unrolled: 1-line block ×8, first 2 shown]
	v_pack_b32_f16 v2, v13, v17
	v_pack_b32_f16 v3, v96, v98
	;; [unrolled: 1-line block ×5, first 2 shown]
	ds_store_2addr_b32 v115, v6, v1 offset0:40 offset1:60
	ds_store_b32 v115, v12 offset:320
	ds_store_2addr_b32 v114, v2, v3 offset1:20
	ds_store_2addr_b32 v114, v4, v0 offset0:40 offset1:60
	ds_store_b32 v114, v5 offset:320
	global_wb scope:SCOPE_SE
	s_wait_dscnt 0x0
	s_barrier_signal -1
	s_barrier_wait -1
	global_inv scope:SCOPE_SE
	ds_load_b32 v1, v82 offset:4000
	ds_load_b32 v2, v82 offset:8000
	;; [unrolled: 1-line block ×12, first 2 shown]
	s_wait_dscnt 0xb
	v_lshrrev_b32_e32 v5, 16, v1
	v_mul_f16_e64 v8, v154, v1
	s_wait_dscnt 0xa
	v_lshrrev_b32_e32 v7, 16, v2
	s_wait_dscnt 0x9
	v_lshrrev_b32_e32 v17, 16, v3
	v_mul_f16_e64 v12, v151, v2
	v_mul_f16_e64 v9, v154, v5
	v_fma_f16 v11, v48, v5, -v8
	ds_load_b32 v5, v82 offset:32000
	v_mul_f16_e64 v15, v151, v7
	v_mul_f16_e64 v16, v144, v17
	v_fmac_f16_e32 v9, v48, v1
	ds_load_b32 v1, v82 offset:28000
	v_fma_f16 v18, v49, v7, -v12
	v_fmac_f16_e32 v15, v49, v2
	s_wait_dscnt 0x8
	v_lshrrev_b32_e32 v2, 16, v6
	v_mul_f16_e64 v7, v144, v3
	v_fmac_f16_e32 v16, v50, v3
	v_mul_f16_e64 v3, v143, v6
	s_wait_dscnt 0x7
	v_lshrrev_b32_e32 v8, 16, v10
	v_mul_f16_e64 v95, v143, v2
	v_fma_f16 v17, v50, v17, -v7
	s_wait_dscnt 0x6
	v_lshrrev_b32_e32 v7, 16, v13
	v_fma_f16 v49, v51, v2, -v3
	v_mul_f16_e64 v2, v141, v10
	v_mul_f16_e64 v48, v141, v8
	v_fmac_f16_e32 v95, v51, v6
	v_mul_f16_e64 v6, v140, v13
	ds_load_b32 v100, v82 offset:30000
	ds_load_b32 v101, v82 offset:26000
	v_fma_f16 v19, v44, v8, -v2
	s_wait_dscnt 0x3
	v_lshrrev_b32_e32 v2, 16, v5
	v_fmac_f16_e32 v48, v44, v10
	s_wait_dscnt 0x2
	v_lshrrev_b32_e32 v3, 16, v1
	v_mul_f16_e64 v51, v140, v7
	v_fma_f16 v50, v45, v7, -v6
	v_mul_f16_e64 v96, v138, v2
	v_mul_f16_e64 v6, v139, v1
	;; [unrolled: 1-line block ×3, first 2 shown]
	v_lshrrev_b32_e32 v7, 16, v4
	v_fmac_f16_e32 v51, v45, v13
	v_fmac_f16_e32 v96, v47, v5
	v_fma_f16 v45, v46, v3, -v6
	v_fmac_f16_e32 v44, v46, v1
	v_mul_f16_e64 v1, v138, v5
	v_lshrrev_b32_e32 v5, 16, v98
	v_lshrrev_b32_e32 v6, 16, v99
	v_mul_f16_e64 v8, v135, v99
	v_sub_f16_e32 v117, v18, v49
	v_fma_f16 v46, v47, v2, -v1
	v_mul_f16_e64 v1, v136, v7
	v_mul_f16_e64 v2, v136, v4
	;; [unrolled: 1-line block ×3, first 2 shown]
	ds_load_b32 v47, v82 offset:34000
	v_mul_f16_e64 v10, v135, v6
	v_fmac_f16_e32 v1, v40, v4
	v_fma_f16 v2, v40, v7, -v2
	v_lshrrev_b32_e32 v7, 16, v14
	v_mul_f16_e64 v4, v134, v98
	v_fmac_f16_e32 v3, v42, v98
	ds_load_b32 v98, v82 offset:36000
	v_lshrrev_b32_e32 v40, 16, v97
	v_fma_f16 v8, v41, v6, -v8
	v_mul_f16_e64 v13, v133, v7
	v_fma_f16 v4, v42, v5, -v4
	v_mul_f16_e64 v5, v133, v14
	v_mul_f16_e64 v6, v132, v40
	v_mul_f16_e64 v42, v132, v97
	v_fmac_f16_e32 v10, v41, v99
	s_wait_dscnt 0x2
	v_lshrrev_b32_e32 v41, 16, v101
	v_fmac_f16_e32 v13, v43, v14
	v_fma_f16 v12, v43, v7, -v5
	v_lshrrev_b32_e32 v43, 16, v100
	v_fmac_f16_e32 v6, v20, v97
	v_fma_f16 v5, v20, v40, -v42
	ds_load_b32 v20, v82 offset:38000
	ds_load_b32 v42, v82
	v_mul_f16_e64 v14, v131, v41
	v_mul_f16_e64 v40, v131, v101
	;; [unrolled: 1-line block ×3, first 2 shown]
	s_wait_dscnt 0x3
	v_lshrrev_b32_e32 v97, 16, v47
	v_mul_f16_e64 v99, v129, v100
	v_fmac_f16_e32 v14, v21, v101
	s_wait_dscnt 0x2
	v_lshrrev_b32_e32 v101, 16, v98
	v_fma_f16 v40, v21, v41, -v40
	v_fmac_f16_e32 v7, v22, v100
	v_mul_f16_e64 v41, v128, v97
	v_mul_f16_e64 v100, v128, v47
	v_mul_f16_e32 v102, v127, v101
	v_fma_f16 v21, v22, v43, -v99
	v_mul_f16_e32 v108, v127, v98
	v_fmac_f16_e32 v41, v23, v47
	v_fma_f16 v22, v23, v97, -v100
	v_sub_f16_e32 v47, v15, v95
	v_sub_f16_e32 v97, v96, v51
	v_fmac_f16_e32 v102, v113, v98
	v_sub_f16_e32 v98, v16, v48
	v_sub_f16_e32 v118, v46, v50
	v_fma_f16 v23, v113, v101, -v108
	v_add_f16_e32 v47, v47, v97
	s_wait_dscnt 0x0
	v_lshrrev_b32_e32 v97, 16, v42
	v_sub_f16_e32 v115, v102, v44
	v_add_f16_e32 v43, v19, v45
	v_add_f16_e32 v126, v9, v16
	v_add_f16_e64 v129, v49, v50
	v_add_f16_e32 v119, v97, v18
	v_add_f16_e32 v98, v98, v115
	;; [unrolled: 1-line block ×4, first 2 shown]
	v_sub_f16_e64 v130, v18, v46
	v_add_f16_e32 v119, v119, v49
	v_sub_f16_e64 v133, v49, v50
	v_sub_f16_e32 v49, v49, v18
	v_add_f16_e32 v18, v18, v46
	v_add_f16_e32 v99, v48, v44
	v_fma_f16 v43, -0.5, v43, v11
	v_sub_f16_e32 v100, v16, v102
	v_sub_f16_e32 v114, v48, v44
	v_add_f16_e32 v127, v11, v17
	v_add_f16_e32 v118, v118, v95
	;; [unrolled: 1-line block ×3, first 2 shown]
	v_add_f16_e64 v128, v95, v51
	v_fma_f16 v129, -0.5, v129, v97
	v_add_f16_e64 v139, v15, v96
	v_fmac_f16_e32 v97, -0.5, v18
	v_sub_f16_e32 v18, v48, v16
	v_add_f16_e32 v48, v17, v23
	v_sub_f16_e32 v101, v17, v19
	v_sub_f16_e32 v108, v23, v45
	v_fma_f16 v99, -0.5, v99, v9
	v_sub_f16_e32 v109, v17, v23
	v_fmamk_f16 v113, v100, 0x3b9c, v43
	v_add_f16_e32 v127, v127, v19
	v_add_f16_e32 v118, v118, v51
	v_fma_f16 v128, -0.5, v128, v42
	v_fmac_f16_e64 v42, -0.5, v139
	v_add_f16_e32 v16, v16, v102
	v_fmac_f16_e32 v11, -0.5, v48
	v_add_f16_e32 v101, v101, v108
	v_fmamk_f16 v108, v109, 0xbb9c, v99
	v_sub_f16_e32 v116, v19, v45
	v_fmac_f16_e32 v113, 0x38b4, v114
	v_add_f16_e32 v119, v119, v50
	v_add_f16_e32 v127, v127, v45
	;; [unrolled: 1-line block ×3, first 2 shown]
	v_sub_f16_e64 v131, v15, v96
	v_sub_f16_e64 v138, v95, v51
	v_sub_f16_e32 v15, v95, v15
	v_sub_f16_e32 v51, v51, v96
	v_fma_f16 v96, 0x3b9c, v133, v42
	v_fmac_f16_e64 v42, 0xbb9c, v133
	v_fmac_f16_e32 v9, -0.5, v16
	v_sub_f16_e32 v16, v19, v17
	v_sub_f16_e32 v17, v45, v23
	v_fmamk_f16 v19, v114, 0xbb9c, v11
	v_fmac_f16_e32 v108, 0xb8b4, v116
	v_fmac_f16_e32 v113, 0x34f2, v101
	v_add_f16_e32 v126, v126, v44
	v_add_f16_e32 v119, v119, v46
	;; [unrolled: 1-line block ×3, first 2 shown]
	v_fma_f16 v132, 0xbb9c, v130, v128
	v_fma_f16 v136, 0x3b9c, v131, v129
	v_add_f16_e32 v15, v15, v51
	v_fmac_f16_e64 v96, 0xb8b4, v130
	v_fmac_f16_e64 v42, 0x38b4, v130
	v_sub_f16_e32 v46, v50, v46
	v_sub_f16_e32 v44, v44, v102
	v_fmamk_f16 v23, v116, 0x3b9c, v9
	v_fmac_f16_e32 v11, 0x3b9c, v114
	v_fmac_f16_e32 v9, 0xbb9c, v116
	v_add_f16_e32 v16, v16, v17
	v_fmac_f16_e32 v19, 0x38b4, v100
	v_fmac_f16_e32 v108, 0x34f2, v98
	v_mul_f16_e32 v117, 0xb8b4, v113
	v_mul_f16_e32 v113, 0x3a79, v113
	v_fmac_f16_e64 v132, 0xb8b4, v133
	v_fmac_f16_e64 v136, 0x38b4, v138
	v_fmac_f16_e32 v96, 0x34f2, v15
	v_fmac_f16_e32 v42, 0x34f2, v15
	v_add_f16_e32 v15, v49, v46
	v_fma_f16 v46, 0xbb9c, v138, v97
	v_add_f16_e32 v17, v18, v44
	v_fmac_f16_e32 v11, 0xb8b4, v100
	v_fmac_f16_e32 v23, 0xb8b4, v109
	;; [unrolled: 1-line block ×4, first 2 shown]
	v_fmac_f16_e64 v128, 0x3b9c, v130
	v_fmac_f16_e32 v117, 0x3a79, v108
	v_fmac_f16_e32 v113, 0x38b4, v108
	v_fmac_f16_e64 v132, 0x34f2, v47
	v_fmac_f16_e64 v136, 0x34f2, v115
	;; [unrolled: 1-line block ×4, first 2 shown]
	v_fmac_f16_e32 v11, 0x34f2, v16
	v_fmac_f16_e32 v23, 0x34f2, v17
	;; [unrolled: 1-line block ×3, first 2 shown]
	v_mul_f16_e32 v16, 0xbb9c, v19
	v_mul_f16_e32 v17, 0x34f2, v19
	v_fmac_f16_e64 v128, 0x38b4, v133
	v_sub_f16_e32 v48, v10, v13
	v_sub_f16_e32 v49, v41, v14
	v_add_f16_e64 v95, v132, v117
	v_add_f16_e64 v50, v136, v113
	v_fmac_f16_e64 v97, 0xb8b4, v131
	v_fmac_f16_e32 v46, 0x34f2, v15
	v_mul_f16_e32 v18, 0xbb9c, v11
	v_mul_f16_e32 v11, 0xb4f2, v11
	v_fmac_f16_e32 v16, 0x34f2, v23
	v_fmac_f16_e32 v17, 0x3b9c, v23
	;; [unrolled: 1-line block ×3, first 2 shown]
	v_fmac_f16_e64 v128, 0x34f2, v47
	v_add_f16_e32 v47, v13, v14
	v_add_f16_e32 v48, v48, v49
	;; [unrolled: 1-line block ×3, first 2 shown]
	v_fmac_f16_e32 v97, 0x34f2, v15
	v_fmac_f16_e32 v18, 0xb4f2, v9
	;; [unrolled: 1-line block ×3, first 2 shown]
	v_pack_b32_f16 v9, v95, v50
	v_add_f16_e32 v15, v96, v16
	v_add_f16_e32 v19, v46, v17
	v_fmac_f16_e32 v99, 0x38b4, v116
	v_sub_f16_e32 v16, v96, v16
	v_sub_f16_e32 v17, v46, v17
	v_fma_f16 v46, -0.5, v47, v0
	v_lshrrev_b32_e32 v50, 16, v0
	v_add_f16_e32 v51, v0, v10
	v_sub_f16_e32 v96, v12, v40
	v_fmac_f16_e32 v0, -0.5, v49
	v_add_f16_e32 v126, v126, v102
	v_add_f16_e32 v44, v97, v11
	v_fmac_f16_e32 v99, 0x34f2, v98
	v_sub_f16_e32 v11, v97, v11
	v_sub_f16_e32 v47, v8, v22
	;; [unrolled: 1-line block ×4, first 2 shown]
	v_fmamk_f16 v98, v96, 0x3b9c, v0
	v_fmac_f16_e32 v0, 0xbb9c, v96
	v_add_f16_e64 v134, v118, v126
	v_add_f16_e64 v135, v119, v127
	v_add_f16_e32 v23, v42, v18
	v_fmamk_f16 v95, v47, 0xbb9c, v46
	v_fmac_f16_e32 v46, 0x3b9c, v47
	v_add_f16_e32 v49, v49, v97
	v_add_f16_e32 v51, v51, v13
	v_fmac_f16_e32 v98, 0xb8b4, v47
	v_fmac_f16_e32 v0, 0x38b4, v47
	v_pack_b32_f16 v108, v134, v135
	v_pack_b32_f16 v15, v15, v19
	;; [unrolled: 1-line block ×3, first 2 shown]
	v_lshrrev_b32_e32 v23, 16, v20
	v_fmac_f16_e32 v95, 0xb8b4, v96
	v_fmac_f16_e32 v46, 0x38b4, v96
	v_add_f16_e32 v51, v51, v14
	v_fmac_f16_e32 v98, 0x34f2, v49
	v_fmac_f16_e32 v0, 0x34f2, v49
	v_add_f16_e32 v49, v50, v8
	global_wb scope:SCOPE_SE
	s_barrier_signal -1
	s_barrier_wait -1
	global_inv scope:SCOPE_SE
	ds_store_2addr_b32 v110, v108, v9 offset1:100
	ds_store_2addr_b32 v111, v15, v19 offset0:72 offset1:172
	v_mul_f16_e32 v9, v112, v23
	v_fmac_f16_e32 v95, 0x34f2, v48
	v_fmac_f16_e32 v46, 0x34f2, v48
	v_add_f16_e32 v48, v51, v41
	v_add_f16_e32 v51, v12, v40
	;; [unrolled: 1-line block ×3, first 2 shown]
	v_sub_f16_e32 v13, v13, v14
	v_add_f16_e32 v14, v8, v22
	v_fmac_f16_e32 v43, 0xbb9c, v100
	v_fmac_f16_e32 v9, v107, v20
	v_sub_f16_e32 v10, v10, v41
	v_sub_f16_e32 v41, v8, v12
	;; [unrolled: 1-line block ×3, first 2 shown]
	v_fma_f16 v51, -0.5, v51, v50
	v_add_f16_e32 v49, v49, v40
	v_fmac_f16_e32 v50, -0.5, v14
	v_sub_f16_e32 v8, v12, v8
	v_sub_f16_e32 v14, v40, v22
	v_fmac_f16_e32 v43, 0xb8b4, v114
	v_mul_f16_e32 v15, v112, v20
	v_add_f16_e32 v41, v41, v96
	v_fmamk_f16 v96, v10, 0x3b9c, v51
	v_fmac_f16_e32 v51, 0xbb9c, v10
	v_add_f16_e32 v12, v49, v22
	v_fmamk_f16 v22, v13, 0xbb9c, v50
	v_fmac_f16_e32 v50, 0x3b9c, v13
	v_add_f16_e32 v8, v8, v14
	v_sub_f16_e32 v14, v3, v6
	v_sub_f16_e32 v40, v9, v7
	v_fmac_f16_e32 v43, 0x34f2, v101
	v_fma_f16 v15, v107, v23, -v15
	v_fmac_f16_e32 v96, 0x38b4, v13
	v_fmac_f16_e32 v51, 0xb8b4, v13
	v_add_f16_e32 v13, v6, v7
	v_fmac_f16_e32 v22, 0x38b4, v10
	v_fmac_f16_e32 v50, 0xb8b4, v10
	v_add_f16_e32 v10, v3, v9
	v_add_f16_e32 v14, v14, v40
	;; [unrolled: 1-line block ×3, first 2 shown]
	v_mul_f16_e32 v19, 0xb8b4, v43
	v_mul_f16_e32 v20, 0xba79, v43
	v_fmac_f16_e32 v96, 0x34f2, v41
	v_fmac_f16_e32 v51, 0x34f2, v41
	v_fma_f16 v13, -0.5, v13, v1
	v_sub_f16_e32 v41, v4, v15
	v_sub_f16_e32 v97, v5, v21
	v_fmac_f16_e32 v1, -0.5, v10
	v_add_f16_e32 v40, v40, v6
	v_fmac_f16_e32 v19, 0xba79, v99
	v_fmac_f16_e32 v20, 0x38b4, v99
	v_fmamk_f16 v49, v41, 0xbb9c, v13
	v_fmac_f16_e32 v13, 0x3b9c, v41
	v_sub_f16_e32 v10, v6, v3
	v_sub_f16_e32 v99, v7, v9
	v_fmamk_f16 v100, v97, 0x3b9c, v1
	v_fmac_f16_e32 v1, 0xbb9c, v97
	v_fmac_f16_e32 v22, 0x34f2, v8
	;; [unrolled: 1-line block ×3, first 2 shown]
	v_add_f16_e32 v8, v40, v7
	v_fmac_f16_e32 v49, 0xb8b4, v97
	v_fmac_f16_e32 v13, 0x38b4, v97
	v_add_f16_e32 v10, v10, v99
	v_fmac_f16_e32 v100, 0xb8b4, v41
	v_fmac_f16_e32 v1, 0x38b4, v41
	v_add_f16_e32 v8, v8, v9
	v_sub_f16_e32 v3, v3, v9
	v_add_f16_e32 v9, v5, v21
	v_add_f16_e32 v40, v4, v15
	v_fmac_f16_e32 v49, 0x34f2, v14
	v_fmac_f16_e32 v13, 0x34f2, v14
	;; [unrolled: 1-line block ×4, first 2 shown]
	v_sub_f16_e32 v10, v4, v5
	v_sub_f16_e32 v14, v15, v21
	v_add_f16_e32 v41, v2, v4
	v_fma_f16 v9, -0.5, v9, v2
	v_sub_f16_e32 v6, v6, v7
	v_fmac_f16_e32 v2, -0.5, v40
	v_add_f16_e32 v7, v10, v14
	v_add_f16_e32 v10, v41, v5
	v_fmamk_f16 v14, v3, 0x3b9c, v9
	v_sub_f16_e32 v4, v5, v4
	v_sub_f16_e32 v5, v21, v15
	v_fmamk_f16 v40, v6, 0xbb9c, v2
	v_fmac_f16_e32 v2, 0x3b9c, v6
	v_fmac_f16_e32 v9, 0xbb9c, v3
	v_fmac_f16_e64 v129, 0xbb9c, v131
	v_fmac_f16_e32 v14, 0x38b4, v6
	v_add_f16_e32 v4, v4, v5
	v_fmac_f16_e32 v40, 0x38b4, v3
	v_fmac_f16_e32 v2, 0xb8b4, v3
	;; [unrolled: 1-line block ×3, first 2 shown]
	v_fmac_f16_e64 v129, 0xb8b4, v138
	v_fmac_f16_e32 v14, 0x34f2, v7
	v_fmac_f16_e32 v40, 0x34f2, v4
	v_add_f16_e32 v10, v10, v21
	v_fmac_f16_e32 v2, 0x34f2, v4
	v_fmac_f16_e32 v9, 0x34f2, v7
	v_fmac_f16_e64 v129, 0x34f2, v115
	v_mul_f16_e32 v3, 0xb8b4, v14
	v_mul_f16_e32 v6, 0x3a79, v14
	;; [unrolled: 1-line block ×3, first 2 shown]
	v_add_f16_e32 v5, v10, v15
	v_mul_f16_e32 v7, 0xbb9c, v40
	v_mul_f16_e32 v10, 0xbb9c, v2
	;; [unrolled: 1-line block ×5, first 2 shown]
	v_sub_f16_e32 v23, v118, v126
	v_sub_f16_e32 v18, v42, v18
	v_add_f16_e64 v42, v128, v19
	v_sub_f16_e32 v44, v119, v127
	v_add_f16_e64 v47, v129, v20
	v_fmac_f16_e32 v3, 0x3a79, v49
	v_fmac_f16_e32 v6, 0x38b4, v49
	;; [unrolled: 1-line block ×3, first 2 shown]
	v_sub_f16_e64 v43, v132, v117
	v_sub_f16_e64 v45, v136, v113
	v_fmac_f16_e32 v7, 0x34f2, v100
	v_fmac_f16_e32 v10, 0xb4f2, v1
	;; [unrolled: 1-line block ×3, first 2 shown]
	v_sub_f16_e64 v19, v128, v19
	v_sub_f16_e64 v20, v129, v20
	v_fmac_f16_e32 v14, 0xba79, v13
	v_fmac_f16_e32 v9, 0x38b4, v13
	v_add_f16_e32 v1, v48, v8
	v_add_f16_e32 v13, v95, v3
	;; [unrolled: 1-line block ×3, first 2 shown]
	v_sub_f16_e32 v5, v12, v5
	v_add_f16_e32 v12, v96, v6
	v_add_f16_e32 v41, v22, v4
	v_sub_f16_e32 v4, v22, v4
	v_pack_b32_f16 v22, v42, v47
	v_pack_b32_f16 v23, v23, v44
	v_add_f16_e32 v15, v98, v7
	v_add_f16_e32 v21, v0, v10
	v_pack_b32_f16 v42, v43, v45
	v_pack_b32_f16 v16, v16, v17
	v_add_f16_e32 v17, v50, v2
	v_sub_f16_e32 v8, v48, v8
	v_sub_f16_e32 v0, v0, v10
	v_add_f16_e32 v10, v46, v14
	v_pack_b32_f16 v11, v18, v11
	v_pack_b32_f16 v18, v19, v20
	v_add_f16_e32 v19, v51, v9
	v_sub_f16_e32 v3, v95, v3
	v_sub_f16_e32 v7, v98, v7
	;; [unrolled: 1-line block ×6, first 2 shown]
	ds_store_2addr_b32 v104, v22, v23 offset0:144 offset1:244
	ds_store_2addr_b32 v105, v42, v16 offset0:88 offset1:188
	;; [unrolled: 1-line block ×3, first 2 shown]
	v_pack_b32_f16 v1, v1, v40
	v_pack_b32_f16 v11, v13, v12
	;; [unrolled: 1-line block ×10, first 2 shown]
	ds_store_2addr_b32 v103, v1, v11 offset1:100
	ds_store_2addr_b32 v120, v12, v13 offset0:72 offset1:172
	ds_store_2addr_b32 v121, v10, v5 offset0:144 offset1:244
	ds_store_2addr_b32 v123, v3, v4 offset0:88 offset1:188
	ds_store_2addr_b32 v124, v0, v2 offset0:32 offset1:132
	global_wb scope:SCOPE_SE
	s_wait_dscnt 0x0
	s_barrier_signal -1
	s_barrier_wait -1
	global_inv scope:SCOPE_SE
	ds_load_b32 v9, v82
	ds_load_b32 v2, v82 offset:4000
	ds_load_b32 v3, v82 offset:8000
	;; [unrolled: 1-line block ×19, first 2 shown]
	s_wait_dscnt 0x13
	v_lshrrev_b32_e32 v18, 16, v9
	s_wait_dscnt 0x12
	v_lshrrev_b32_e32 v19, 16, v2
	s_wait_dscnt 0x11
	v_lshrrev_b32_e32 v20, 16, v3
	v_mul_f16_e64 v51, v162, v2
	s_wait_dscnt 0xf
	v_lshrrev_b32_e32 v22, 16, v5
	v_lshrrev_b32_e32 v21, 16, v4
	v_mul_f16_e64 v47, v162, v19
	v_mul_f16_e64 v95, v161, v20
	s_wait_dscnt 0xe
	v_lshrrev_b32_e32 v23, 16, v6
	s_wait_dscnt 0xd
	v_lshrrev_b32_e32 v40, 16, v7
	;; [unrolled: 2-line block ×3, first 2 shown]
	v_fmac_f16_e32 v47, v28, v2
	v_mul_f16_e64 v2, v161, v3
	v_fmac_f16_e32 v95, v29, v3
	v_mul_f16_e64 v3, v159, v5
	s_wait_dscnt 0xa
	v_lshrrev_b32_e32 v46, 16, v11
	v_fma_f16 v19, v28, v19, -v51
	v_fma_f16 v20, v29, v20, -v2
	v_mul_f16_e64 v2, v160, v4
	v_mul_f16_e64 v29, v159, v22
	;; [unrolled: 1-line block ×3, first 2 shown]
	v_fma_f16 v22, v31, v22, -v3
	v_mul_f16_e64 v3, v157, v7
	v_fma_f16 v21, v30, v21, -v2
	v_fmac_f16_e32 v29, v31, v5
	v_mul_f16_e64 v31, v158, v23
	v_mul_f16_e64 v2, v158, v6
	v_lshrrev_b32_e32 v43, 16, v8
	s_wait_dscnt 0x4
	v_lshrrev_b32_e32 v49, 16, v16
	v_mul_f16_e64 v99, v157, v40
	v_fmac_f16_e32 v31, v24, v6
	v_fma_f16 v23, v24, v23, -v2
	v_fma_f16 v24, v25, v40, -v3
	v_mul_f16_e64 v40, v155, v44
	v_mul_f16_e64 v3, v155, v10
	;; [unrolled: 1-line block ×3, first 2 shown]
	v_lshrrev_b32_e32 v48, 16, v12
	v_lshrrev_b32_e32 v96, 16, v14
	v_fmac_f16_e32 v99, v25, v7
	v_mul_f16_e64 v25, v156, v43
	v_mul_f16_e64 v2, v156, v8
	v_fmac_f16_e32 v40, v27, v10
	v_fma_f16 v10, v27, v44, -v3
	v_fmac_f16_e32 v101, v125, v11
	v_mul_f16_e64 v3, v153, v11
	v_mul_f16_e64 v11, v150, v49
	v_lshrrev_b32_e32 v50, 16, v15
	v_lshrrev_b32_e32 v51, 16, v13
	v_fmac_f16_e32 v28, v30, v4
	v_fmac_f16_e32 v25, v26, v8
	v_fma_f16 v26, v26, v43, -v2
	v_mul_f16_e64 v2, v152, v48
	v_mul_f16_e64 v4, v152, v12
	;; [unrolled: 1-line block ×3, first 2 shown]
	v_fmac_f16_e32 v11, v33, v16
	v_mul_f16_e64 v16, v148, v96
	v_mul_f16_e64 v6, v148, v14
	s_wait_dscnt 0x1
	v_lshrrev_b32_e32 v97, 16, v42
	v_lshrrev_b32_e32 v30, 16, v41
	v_fma_f16 v27, v125, v46, -v3
	v_fmac_f16_e32 v2, v32, v12
	v_fma_f16 v3, v32, v48, -v4
	v_fma_f16 v12, v33, v49, -v5
	v_mul_f16_e64 v4, v149, v50
	v_mul_f16_e64 v8, v147, v51
	v_fmac_f16_e32 v16, v35, v14
	v_fma_f16 v14, v35, v96, -v6
	v_mul_f16_e64 v6, v147, v13
	v_mul_f16_e64 v33, v145, v41
	s_wait_dscnt 0x0
	v_lshrrev_b32_e32 v98, 16, v45
	v_mul_f16_e64 v5, v149, v15
	v_fmac_f16_e32 v4, v34, v15
	v_fmac_f16_e32 v8, v36, v13
	v_mul_f16_e64 v13, v146, v97
	v_mul_f16_e64 v15, v146, v42
	;; [unrolled: 1-line block ×3, first 2 shown]
	v_fma_f16 v7, v36, v51, -v6
	v_fma_f16 v6, v38, v30, -v33
	v_add_f16_e32 v30, v29, v99
	v_fma_f16 v5, v34, v50, -v5
	v_fmac_f16_e32 v13, v37, v42
	v_fma_f16 v15, v37, v97, -v15
	v_mul_f16_e64 v33, v142, v98
	v_mul_f16_e64 v34, v142, v45
	v_fma_f16 v30, -0.5, v30, v9
	v_sub_f16_e32 v37, v20, v10
	v_add_f16_e32 v43, v95, v40
	v_fmac_f16_e32 v32, v38, v41
	v_add_f16_e32 v36, v9, v95
	v_fmac_f16_e32 v33, v39, v45
	v_fma_f16 v34, v39, v98, -v34
	v_fmamk_f16 v38, v37, 0xbb9c, v30
	v_sub_f16_e32 v39, v22, v24
	v_sub_f16_e32 v41, v95, v29
	;; [unrolled: 1-line block ×3, first 2 shown]
	v_fmac_f16_e32 v9, -0.5, v43
	v_fmac_f16_e32 v30, 0x3b9c, v37
	v_add_f16_e32 v45, v18, v20
	v_fmac_f16_e32 v38, 0xb8b4, v39
	v_add_f16_e32 v41, v41, v42
	v_fmamk_f16 v42, v39, 0x3b9c, v9
	v_fmac_f16_e32 v30, 0x38b4, v39
	v_fmac_f16_e32 v9, 0xbb9c, v39
	v_add_f16_e32 v39, v45, v22
	v_add_f16_e32 v36, v36, v29
	v_fmac_f16_e32 v38, 0x34f2, v41
	v_sub_f16_e32 v43, v29, v95
	v_sub_f16_e32 v44, v99, v40
	v_add_f16_e32 v46, v22, v24
	v_fmac_f16_e32 v42, 0xb8b4, v37
	v_fmac_f16_e32 v30, 0x34f2, v41
	;; [unrolled: 1-line block ×3, first 2 shown]
	v_add_f16_e32 v37, v39, v24
	v_add_f16_e32 v41, v20, v10
	;; [unrolled: 1-line block ×4, first 2 shown]
	v_fma_f16 v44, -0.5, v46, v18
	v_sub_f16_e32 v29, v29, v99
	v_sub_f16_e32 v45, v20, v22
	;; [unrolled: 1-line block ×3, first 2 shown]
	v_fmac_f16_e32 v18, -0.5, v41
	v_add_f16_e32 v37, v37, v10
	v_sub_f16_e32 v20, v22, v20
	v_sub_f16_e32 v10, v24, v10
	v_add_f16_e32 v22, v47, v28
	v_add_f16_e32 v36, v36, v40
	v_sub_f16_e32 v40, v95, v40
	v_fmac_f16_e32 v42, 0x34f2, v43
	v_fmac_f16_e32 v9, 0x34f2, v43
	v_fmamk_f16 v43, v29, 0xbb9c, v18
	v_add_f16_e32 v10, v20, v10
	v_fmac_f16_e32 v18, 0x3b9c, v29
	v_add_f16_e32 v20, v22, v31
	v_fmamk_f16 v39, v40, 0x3b9c, v44
	v_fmac_f16_e32 v44, 0xbb9c, v40
	v_fmac_f16_e32 v43, 0x38b4, v40
	v_add_f16_e32 v22, v31, v25
	v_fmac_f16_e32 v18, 0xb8b4, v40
	v_add_f16_e32 v20, v20, v25
	v_add_f16_e32 v24, v28, v101
	v_fmac_f16_e32 v39, 0x38b4, v29
	v_add_f16_e32 v41, v45, v46
	v_fmac_f16_e32 v44, 0xb8b4, v29
	v_fmac_f16_e32 v43, 0x34f2, v10
	v_fma_f16 v22, -0.5, v22, v47
	v_sub_f16_e32 v29, v21, v27
	v_fmac_f16_e32 v18, 0x34f2, v10
	v_add_f16_e32 v10, v20, v101
	v_sub_f16_e32 v20, v23, v26
	v_fmac_f16_e32 v47, -0.5, v24
	v_fmac_f16_e32 v39, 0x34f2, v41
	v_fmac_f16_e32 v44, 0x34f2, v41
	v_fmamk_f16 v24, v29, 0xbb9c, v22
	v_sub_f16_e32 v40, v28, v31
	v_sub_f16_e32 v41, v101, v25
	v_fmac_f16_e32 v22, 0x3b9c, v29
	v_fmamk_f16 v45, v20, 0x3b9c, v47
	v_fmac_f16_e32 v47, 0xbb9c, v20
	v_sub_f16_e32 v46, v31, v28
	v_sub_f16_e32 v48, v25, v101
	v_fmac_f16_e32 v24, 0xb8b4, v20
	v_add_f16_e32 v40, v40, v41
	v_fmac_f16_e32 v22, 0x38b4, v20
	v_fmac_f16_e32 v45, 0xb8b4, v29
	v_add_f16_e32 v20, v23, v26
	v_fmac_f16_e32 v47, 0x38b4, v29
	v_add_f16_e32 v29, v21, v27
	v_add_f16_e32 v41, v46, v48
	v_fmac_f16_e32 v24, 0x34f2, v40
	v_fmac_f16_e32 v22, 0x34f2, v40
	v_fma_f16 v20, -0.5, v20, v19
	v_sub_f16_e32 v28, v28, v101
	v_add_f16_e32 v40, v19, v21
	v_sub_f16_e32 v25, v31, v25
	v_fmac_f16_e32 v19, -0.5, v29
	v_fmac_f16_e32 v45, 0x34f2, v41
	v_fmac_f16_e32 v47, 0x34f2, v41
	v_fmamk_f16 v29, v28, 0x3b9c, v20
	v_sub_f16_e32 v31, v21, v23
	v_sub_f16_e32 v41, v27, v26
	v_fmamk_f16 v46, v25, 0xbb9c, v19
	v_sub_f16_e32 v21, v23, v21
	v_sub_f16_e32 v48, v26, v27
	v_fmac_f16_e32 v19, 0x3b9c, v25
	v_fmac_f16_e32 v20, 0xbb9c, v28
	v_add_f16_e32 v31, v31, v41
	v_fmac_f16_e32 v46, 0x38b4, v28
	v_add_f16_e32 v21, v21, v48
	;; [unrolled: 2-line block ×3, first 2 shown]
	v_fmac_f16_e32 v20, 0xb8b4, v25
	v_fmac_f16_e32 v29, 0x38b4, v25
	;; [unrolled: 1-line block ×4, first 2 shown]
	v_add_f16_e32 v21, v23, v26
	v_fmac_f16_e32 v20, 0x34f2, v31
	v_fmac_f16_e32 v29, 0x34f2, v31
	v_mul_f16_e32 v25, 0xbb9c, v46
	v_mul_f16_e32 v26, 0xbb9c, v19
	v_add_f16_e32 v21, v21, v27
	v_mul_f16_e32 v27, 0xb8b4, v20
	v_mul_f16_e32 v46, 0x34f2, v46
	v_mul_f16_e32 v23, 0xb8b4, v29
	v_fmac_f16_e32 v26, 0xb4f2, v47
	v_mul_f16_e32 v29, 0x3a79, v29
	v_fmac_f16_e32 v27, 0xba79, v22
	v_mul_f16_e32 v20, 0xba79, v20
	v_fmac_f16_e32 v46, 0x3b9c, v45
	v_fmac_f16_e32 v25, 0x34f2, v45
	v_add_f16_e32 v28, v36, v10
	v_add_f16_e32 v41, v9, v26
	v_mul_f16_e32 v19, 0xb4f2, v19
	v_add_f16_e32 v48, v30, v27
	v_fmac_f16_e32 v29, 0x38b4, v24
	v_fmac_f16_e32 v20, 0x38b4, v22
	v_add_f16_e32 v22, v37, v21
	v_add_f16_e32 v45, v43, v46
	v_sub_f16_e32 v10, v36, v10
	v_add_f16_e32 v36, v16, v13
	v_sub_f16_e32 v9, v9, v26
	v_sub_f16_e32 v26, v30, v27
	v_add_f16_e32 v27, v0, v11
	v_sub_f16_e32 v21, v37, v21
	v_sub_f16_e32 v37, v43, v46
	v_add_f16_e32 v46, v11, v33
	v_lshrrev_b32_e32 v1, 16, v0
	v_fmac_f16_e32 v23, 0x3a79, v24
	v_add_f16_e32 v40, v42, v25
	v_fmac_f16_e32 v19, 0x3b9c, v47
	v_add_f16_e32 v24, v39, v29
	v_sub_f16_e32 v25, v42, v25
	v_fma_f16 v30, -0.5, v36, v0
	v_sub_f16_e32 v36, v12, v34
	v_sub_f16_e32 v29, v39, v29
	v_add_f16_e32 v27, v27, v16
	v_sub_f16_e32 v39, v14, v15
	v_sub_f16_e32 v42, v11, v16
	;; [unrolled: 1-line block ×3, first 2 shown]
	v_fmac_f16_e32 v0, -0.5, v46
	v_add_f16_e32 v31, v38, v23
	v_add_f16_e32 v47, v18, v19
	v_add_f16_e32 v49, v44, v20
	v_sub_f16_e32 v23, v38, v23
	v_fmamk_f16 v38, v36, 0xbb9c, v30
	v_sub_f16_e32 v18, v18, v19
	v_add_f16_e32 v19, v27, v13
	v_add_f16_e32 v27, v42, v43
	v_sub_f16_e32 v20, v44, v20
	v_fmac_f16_e32 v30, 0x3b9c, v36
	v_fmamk_f16 v42, v39, 0x3b9c, v0
	v_sub_f16_e32 v43, v16, v11
	v_sub_f16_e32 v44, v13, v33
	v_add_f16_e32 v46, v1, v12
	v_add_f16_e32 v50, v14, v15
	v_fmac_f16_e32 v0, 0xbb9c, v39
	v_lshrrev_b32_e32 v100, 16, v17
	v_fmac_f16_e32 v38, 0xb8b4, v39
	v_fmac_f16_e32 v30, 0x38b4, v39
	;; [unrolled: 1-line block ×3, first 2 shown]
	v_add_f16_e32 v43, v43, v44
	v_add_f16_e32 v39, v46, v14
	v_fma_f16 v44, -0.5, v50, v1
	v_sub_f16_e32 v11, v11, v33
	v_fmac_f16_e32 v0, 0x38b4, v36
	v_add_f16_e32 v36, v12, v34
	v_mul_f16_e64 v35, v137, v100
	v_add_f16_e32 v19, v19, v33
	v_fmac_f16_e32 v38, 0x34f2, v27
	v_fmac_f16_e32 v30, 0x34f2, v27
	v_add_f16_e32 v27, v39, v15
	v_fmamk_f16 v33, v11, 0x3b9c, v44
	v_sub_f16_e32 v13, v16, v13
	v_sub_f16_e32 v16, v12, v14
	;; [unrolled: 1-line block ×3, first 2 shown]
	v_fmac_f16_e32 v1, -0.5, v36
	v_fmac_f16_e32 v44, 0xbb9c, v11
	v_sub_f16_e32 v12, v14, v12
	v_sub_f16_e32 v14, v15, v34
	v_add_f16_e32 v15, v2, v4
	v_fmac_f16_e32 v35, v122, v17
	v_mul_f16_e64 v17, v137, v17
	v_fmac_f16_e32 v33, 0x38b4, v13
	v_fmamk_f16 v36, v13, 0xbb9c, v1
	v_fmac_f16_e32 v44, 0xb8b4, v13
	v_add_f16_e32 v12, v12, v14
	v_fmac_f16_e32 v1, 0x3b9c, v13
	v_add_f16_e32 v13, v15, v8
	v_add_f16_e32 v14, v8, v32
	v_fma_f16 v17, v122, v100, -v17
	v_fmac_f16_e32 v36, 0x38b4, v11
	v_fmac_f16_e32 v1, 0xb8b4, v11
	v_add_f16_e32 v11, v13, v32
	v_fma_f16 v13, -0.5, v14, v2
	v_add_f16_e32 v14, v4, v35
	v_add_f16_e32 v16, v16, v39
	v_fmac_f16_e32 v36, 0x34f2, v12
	v_sub_f16_e32 v15, v5, v17
	v_fmac_f16_e32 v1, 0x34f2, v12
	v_sub_f16_e32 v12, v7, v6
	v_fmac_f16_e32 v2, -0.5, v14
	v_add_f16_e32 v27, v27, v34
	v_fmac_f16_e32 v33, 0x34f2, v16
	v_fmac_f16_e32 v44, 0x34f2, v16
	v_fmamk_f16 v14, v15, 0xbb9c, v13
	v_sub_f16_e32 v16, v4, v8
	v_sub_f16_e32 v34, v35, v32
	v_fmac_f16_e32 v13, 0x3b9c, v15
	v_fmamk_f16 v39, v12, 0x3b9c, v2
	v_fmac_f16_e32 v2, 0xbb9c, v12
	v_fmac_f16_e32 v42, 0x34f2, v43
	;; [unrolled: 1-line block ×3, first 2 shown]
	v_sub_f16_e32 v43, v8, v4
	v_sub_f16_e32 v46, v32, v35
	v_fmac_f16_e32 v14, 0xb8b4, v12
	v_add_f16_e32 v16, v16, v34
	v_fmac_f16_e32 v13, 0x38b4, v12
	v_fmac_f16_e32 v39, 0xb8b4, v15
	v_add_f16_e32 v12, v7, v6
	v_fmac_f16_e32 v2, 0x38b4, v15
	v_add_f16_e32 v15, v5, v17
	v_add_f16_e32 v34, v43, v46
	v_fmac_f16_e32 v14, 0x34f2, v16
	v_fmac_f16_e32 v13, 0x34f2, v16
	v_fma_f16 v12, -0.5, v12, v3
	v_sub_f16_e32 v4, v4, v35
	v_add_f16_e32 v16, v3, v5
	v_sub_f16_e32 v8, v8, v32
	v_fmac_f16_e32 v3, -0.5, v15
	v_add_f16_e32 v11, v11, v35
	v_fmac_f16_e32 v39, 0x34f2, v34
	v_fmac_f16_e32 v2, 0x34f2, v34
	v_fmamk_f16 v15, v4, 0x3b9c, v12
	v_sub_f16_e32 v32, v5, v7
	v_sub_f16_e32 v34, v17, v6
	v_fmamk_f16 v35, v8, 0xbb9c, v3
	v_sub_f16_e32 v5, v7, v5
	v_sub_f16_e32 v43, v6, v17
	v_fmac_f16_e32 v3, 0x3b9c, v8
	v_fmac_f16_e32 v12, 0xbb9c, v4
	v_add_f16_e32 v32, v32, v34
	v_fmac_f16_e32 v15, 0x38b4, v8
	v_add_f16_e32 v5, v5, v43
	v_fmac_f16_e32 v3, 0xb8b4, v4
	v_fmac_f16_e32 v12, 0xb8b4, v8
	;; [unrolled: 1-line block ×3, first 2 shown]
	v_add_f16_e32 v4, v16, v7
	v_fmac_f16_e32 v15, 0x34f2, v32
	v_fmac_f16_e32 v3, 0x34f2, v5
	;; [unrolled: 1-line block ×4, first 2 shown]
	v_add_f16_e32 v4, v4, v6
	v_mul_f16_e32 v5, 0xb8b4, v15
	v_mul_f16_e32 v7, 0xbb9c, v3
	;; [unrolled: 1-line block ×6, first 2 shown]
	v_fmac_f16_e32 v7, 0xb4f2, v2
	v_fmac_f16_e32 v8, 0xba79, v13
	v_mul_f16_e32 v15, 0x3a79, v15
	v_mul_f16_e32 v35, 0x34f2, v35
	v_fmac_f16_e32 v3, 0x3b9c, v2
	v_fmac_f16_e32 v12, 0x38b4, v13
	v_add_f16_e32 v4, v4, v17
	v_fmac_f16_e32 v5, 0x3a79, v14
	v_fmac_f16_e32 v6, 0x34f2, v39
	v_add_f16_e32 v34, v0, v7
	;; [unrolled: 3-line block ×3, first 2 shown]
	v_sub_f16_e32 v0, v0, v7
	v_sub_f16_e32 v7, v30, v8
	;; [unrolled: 1-line block ×4, first 2 shown]
	v_add_f16_e32 v16, v19, v11
	v_add_f16_e32 v2, v27, v4
	;; [unrolled: 1-line block ×3, first 2 shown]
	v_pack_b32_f16 v12, v26, v20
	v_add_f16_e32 v17, v38, v5
	v_add_f16_e32 v32, v42, v6
	;; [unrolled: 1-line block ×4, first 2 shown]
	v_sub_f16_e32 v11, v19, v11
	v_pack_b32_f16 v19, v28, v22
	v_pack_b32_f16 v0, v0, v1
	;; [unrolled: 1-line block ×5, first 2 shown]
	v_add_f16_e32 v43, v30, v8
	ds_store_b32 v82, v12 offset:36000
	ds_store_b32 v82, v19
	v_pack_b32_f16 v7, v40, v45
	v_pack_b32_f16 v12, v41, v47
	;; [unrolled: 1-line block ×3, first 2 shown]
	ds_store_b32 v82, v3 offset:4000
	ds_store_b32 v82, v2 offset:2000
	v_pack_b32_f16 v2, v32, v14
	v_sub_f16_e32 v4, v27, v4
	v_pack_b32_f16 v16, v48, v49
	v_pack_b32_f16 v3, v34, v39
	v_sub_f16_e32 v5, v38, v5
	v_sub_f16_e32 v8, v33, v15
	v_pack_b32_f16 v10, v10, v21
	ds_store_b32 v82, v7 offset:8000
	ds_store_b32 v82, v13 offset:6000
	;; [unrolled: 1-line block ×4, first 2 shown]
	v_pack_b32_f16 v2, v43, v46
	v_sub_f16_e32 v6, v42, v6
	v_sub_f16_e32 v15, v36, v35
	v_pack_b32_f16 v19, v23, v29
	ds_store_b32 v82, v16 offset:16000
	ds_store_b32 v82, v3 offset:14000
	v_pack_b32_f16 v3, v11, v4
	v_pack_b32_f16 v20, v25, v37
	ds_store_b32 v82, v10 offset:20000
	ds_store_b32 v82, v2 offset:18000
	v_pack_b32_f16 v2, v5, v8
	v_pack_b32_f16 v9, v9, v18
	;; [unrolled: 1-line block ×3, first 2 shown]
	ds_store_b32 v82, v19 offset:24000
	ds_store_b32 v82, v3 offset:22000
	;; [unrolled: 1-line block ×8, first 2 shown]
	global_wb scope:SCOPE_SE
	s_wait_dscnt 0x0
	s_barrier_signal -1
	s_barrier_wait -1
	global_inv scope:SCOPE_SE
	ds_load_b32 v1, v82
	ds_load_b32 v15, v82 offset:2000
	ds_load_b32 v11, v82 offset:4000
	;; [unrolled: 1-line block ×6, first 2 shown]
	s_wait_dscnt 0x6
	v_lshrrev_b32_e32 v5, 16, v1
	s_delay_alu instid0(VALU_DEP_1) | instskip(SKIP_2) | instid1(VALU_DEP_2)
	v_mul_f16_e32 v3, v94, v5
	s_wait_dscnt 0x0
	v_lshrrev_b32_e32 v18, 16, v8
	v_fmac_f16_e32 v3, v91, v1
	v_mul_f16_e32 v1, v94, v1
	s_delay_alu instid0(VALU_DEP_2) | instskip(NEXT) | instid1(VALU_DEP_2)
	v_cvt_f32_f16_e32 v3, v3
	v_fma_f16 v1, v91, v5, -v1
	s_delay_alu instid0(VALU_DEP_2) | instskip(NEXT) | instid1(VALU_DEP_2)
	v_cvt_f64_f32_e32 v[3:4], v3
	v_cvt_f32_f16_e32 v1, v1
	s_delay_alu instid0(VALU_DEP_1) | instskip(NEXT) | instid1(VALU_DEP_3)
	v_cvt_f64_f32_e32 v[5:6], v1
	v_mul_f64_e32 v[12:13], s[8:9], v[3:4]
	v_mul_f16_e32 v3, v93, v18
	s_delay_alu instid0(VALU_DEP_3) | instskip(NEXT) | instid1(VALU_DEP_2)
	v_mul_f64_e32 v[16:17], s[8:9], v[5:6]
	v_fmac_f16_e32 v3, v90, v8
	v_mul_f16_e32 v8, v93, v8
	ds_load_b32 v9, v82 offset:24000
	ds_load_b32 v14, v82 offset:12000
	;; [unrolled: 1-line block ×6, first 2 shown]
	v_cvt_f32_f16_e32 v3, v3
	v_fma_f16 v8, v90, v18, -v8
	s_delay_alu instid0(VALU_DEP_1) | instskip(SKIP_4) | instid1(VALU_DEP_4)
	v_cvt_f32_f16_e32 v8, v8
	v_and_or_b32 v4, 0x1ff, v13, v12
	v_lshrrev_b32_e32 v19, 8, v13
	v_bfe_u32 v20, v13, 20, 11
	v_lshrrev_b32_e32 v13, 16, v13
	v_cmp_ne_u32_e32 vcc_lo, 0, v4
	v_cvt_f64_f32_e32 v[3:4], v3
	v_and_or_b32 v16, 0x1ff, v17, v16
	v_lshrrev_b32_e32 v22, 8, v17
	v_bfe_u32 v25, v17, 20, 11
	s_wait_alu 0xfffd
	v_cndmask_b32_e64 v12, 0, 1, vcc_lo
	v_add_nc_u32_e32 v26, 0xfffffc10, v20
	v_cmp_ne_u32_e32 vcc_lo, 0, v16
	v_sub_nc_u32_e32 v18, 0x3f1, v25
	s_delay_alu instid0(VALU_DEP_4)
	v_and_or_b32 v24, 0xffe, v19, v12
	v_sub_nc_u32_e32 v12, 0x3f1, v20
	s_wait_alu 0xfffd
	v_cndmask_b32_e64 v16, 0, 1, vcc_lo
	v_add_nc_u32_e32 v31, 0xfffffc10, v25
	v_or_b32_e32 v19, 0x1000, v24
	v_med3_i32 v12, v12, 0, 13
	s_delay_alu instid0(VALU_DEP_4) | instskip(SKIP_1) | instid1(VALU_DEP_3)
	v_and_or_b32 v16, 0xffe, v22, v16
	v_med3_i32 v22, v18, 0, 13
	v_lshrrev_b32_e32 v21, v12, v19
	s_delay_alu instid0(VALU_DEP_3) | instskip(NEXT) | instid1(VALU_DEP_2)
	v_or_b32_e32 v27, 0x1000, v16
	v_lshlrev_b32_e32 v12, v12, v21
	s_delay_alu instid0(VALU_DEP_2) | instskip(NEXT) | instid1(VALU_DEP_2)
	v_lshrrev_b32_e32 v28, v22, v27
	v_cmp_ne_u32_e32 vcc_lo, v12, v19
	v_cvt_f64_f32_e32 v[18:19], v8
	v_lshl_or_b32 v8, v26, 12, v24
	s_wait_alu 0xfffd
	v_cndmask_b32_e64 v12, 0, 1, vcc_lo
	v_cmp_gt_i32_e32 vcc_lo, 1, v26
	s_delay_alu instid0(VALU_DEP_2)
	v_or_b32_e32 v12, v21, v12
	v_mul_f64_e32 v[20:21], s[8:9], v[3:4]
	v_lshlrev_b32_e32 v3, v22, v28
	v_mad_co_u64_u32 v[22:23], null, s6, v52, 0
	s_wait_alu 0xfffd
	v_cndmask_b32_e32 v29, v8, v12, vcc_lo
	ds_load_b32 v12, v82 offset:22000
	v_cmp_ne_u32_e64 s2, v3, v27
	ds_load_b32 v8, v82 offset:34000
	ds_load_b32 v4, v82 offset:36000
	v_dual_mov_b32 v3, v23 :: v_dual_and_b32 v30, 7, v29
	s_wait_alu 0xf1fe
	v_cndmask_b32_e64 v27, 0, 1, s2
	v_lshrrev_b32_e32 v23, 2, v29
	s_delay_alu instid0(VALU_DEP_3) | instskip(SKIP_1) | instid1(VALU_DEP_4)
	v_cmp_lt_i32_e32 vcc_lo, 5, v30
	v_cmp_eq_u32_e64 s2, 3, v30
	v_or_b32_e32 v25, v28, v27
	v_lshl_or_b32 v27, v31, 12, v16
	s_wait_dscnt 0x3
	v_lshrrev_b32_e32 v30, 16, v6
	s_or_b32 vcc_lo, s2, vcc_lo
	s_load_b64 s[2:3], s[0:1], 0x38
	v_add_co_ci_u32_e32 v28, vcc_lo, 0, v23, vcc_lo
	v_cmp_ne_u32_e32 vcc_lo, 0, v24
	s_wait_dscnt 0x0
	v_mad_co_u64_u32 v[23:24], null, s7, v52, v[3:4]
	s_wait_alu 0xfffd
	v_cndmask_b32_e64 v29, 0, 1, vcc_lo
	v_cmp_gt_i32_e32 vcc_lo, 1, v31
	v_mul_f64_e32 v[18:19], s[8:9], v[18:19]
	s_wait_alu 0xfffd
	v_cndmask_b32_e32 v3, v27, v25, vcc_lo
	v_mul_f16_e32 v25, v92, v30
	v_cmp_gt_i32_e32 vcc_lo, 31, v26
	v_and_or_b32 v20, 0x1ff, v21, v20
	v_bfe_u32 v32, v21, 20, 11
	v_and_b32_e32 v24, 7, v3
	v_fmac_f16_e32 v25, v89, v6
	s_wait_alu 0xfffd
	v_cndmask_b32_e32 v27, 0x7c00, v28, vcc_lo
	v_cmp_ne_u32_e64 s0, 0, v20
	v_lshrrev_b32_e32 v3, 2, v3
	v_cmp_lt_i32_e32 vcc_lo, 5, v24
	v_cvt_f32_f16_e32 v25, v25
	v_lshl_or_b32 v28, v29, 9, 0x7c00
	s_wait_alu 0xf1ff
	v_cndmask_b32_e64 v20, 0, 1, s0
	v_cmp_eq_u32_e64 s0, 3, v24
	v_lshrrev_b32_e32 v29, 8, v21
	v_cvt_f64_f32_e32 v[24:25], v25
	v_mul_f16_e32 v6, v92, v6
	v_lshlrev_b64_e32 v[22:23], 2, v[22:23]
	s_or_b32 vcc_lo, s0, vcc_lo
	v_and_or_b32 v20, 0xffe, v29, v20
	s_wait_alu 0xfffe
	v_add_co_ci_u32_e32 v3, vcc_lo, 0, v3, vcc_lo
	v_sub_nc_u32_e32 v29, 0x3f1, v32
	v_cmp_ne_u32_e32 vcc_lo, 0, v16
	v_or_b32_e32 v33, 0x1000, v20
	v_fma_f16 v6, v89, v30, -v6
	v_lshrrev_b32_e32 v21, 16, v21
	v_med3_i32 v29, v29, 0, 13
	s_wait_alu 0xfffd
	v_cndmask_b32_e64 v16, 0, 1, vcc_lo
	v_cmp_eq_u32_e32 vcc_lo, 0x40f, v26
	v_cvt_f32_f16_e32 v6, v6
	v_lshrrev_b32_e32 v34, v29, v33
	s_delay_alu instid0(VALU_DEP_4)
	v_lshl_or_b32 v16, v16, 9, 0x7c00
	s_wait_alu 0xfffd
	v_cndmask_b32_e32 v28, v27, v28, vcc_lo
	v_cmp_gt_i32_e32 vcc_lo, 31, v31
	v_mad_co_u64_u32 v[26:27], null, s4, v84, 0
	v_lshlrev_b32_e32 v29, v29, v34
	v_bfe_u32 v35, v19, 20, 11
	s_wait_alu 0xfffd
	v_cndmask_b32_e32 v3, 0x7c00, v3, vcc_lo
	v_cmp_eq_u32_e32 vcc_lo, 0x40f, v31
	v_add_nc_u32_e32 v31, 0xfffffc10, v32
	v_and_or_b32 v13, 0x8000, v13, v28
	s_wait_alu 0xfffd
	v_cndmask_b32_e32 v30, v3, v16, vcc_lo
	v_and_or_b32 v16, 0x1ff, v19, v18
	v_cmp_ne_u32_e32 vcc_lo, v29, v33
	v_lshrrev_b32_e32 v18, 16, v17
	v_mov_b32_e32 v3, v27
	v_lshrrev_b32_e32 v33, 8, v19
	v_and_b32_e32 v13, 0xffff, v13
	s_wait_alu 0xfffd
	v_cndmask_b32_e64 v29, 0, 1, vcc_lo
	v_cmp_ne_u32_e32 vcc_lo, 0, v16
	v_cvt_f64_f32_e32 v[16:17], v6
	v_mul_f64_e32 v[24:25], s[8:9], v[24:25]
	v_mad_co_u64_u32 v[27:28], null, s5, v84, v[3:4]
	s_wait_alu 0xfffd
	v_cndmask_b32_e64 v32, 0, 1, vcc_lo
	v_sub_nc_u32_e32 v3, 0x3f1, v35
	v_and_or_b32 v18, 0x8000, v18, v30
	ds_load_b32 v30, v82 offset:30000
	v_or_b32_e32 v6, v34, v29
	v_and_or_b32 v28, 0xffe, v33, v32
	v_med3_i32 v3, v3, 0, 13
	v_lshl_or_b32 v29, v31, 12, v20
	v_cmp_gt_i32_e32 vcc_lo, 1, v31
	v_lshl_or_b32 v34, v18, 16, v13
	v_or_b32_e32 v32, 0x1000, v28
	s_wait_alu 0xfffd
	v_cndmask_b32_e32 v29, v29, v6, vcc_lo
	s_wait_kmcnt 0x0
	v_add_co_u32 v36, vcc_lo, s2, v22
	v_lshrrev_b32_e32 v33, v3, v32
	s_wait_alu 0xfffd
	v_add_co_ci_u32_e32 v37, vcc_lo, s3, v23, vcc_lo
	v_and_b32_e32 v18, 7, v29
	v_lshrrev_b32_e32 v29, 2, v29
	v_lshlrev_b32_e32 v3, v3, v33
	s_mul_u64 s[2:3], s[4:5], 0x2710
	s_mul_u64 s[4:5], s[4:5], s[12:13]
	v_cmp_eq_u32_e64 s0, 3, v18
	s_delay_alu instid0(VALU_DEP_2)
	v_cmp_ne_u32_e32 vcc_lo, v3, v32
	v_add_nc_u32_e32 v32, 0xfffffc10, v35
	s_wait_dscnt 0x0
	v_lshrrev_b32_e32 v35, 16, v30
	ds_load_b32 v13, v82 offset:32000
	ds_load_b32 v6, v82 offset:26000
	;; [unrolled: 1-line block ×3, first 2 shown]
	s_wait_alu 0xfffd
	v_cndmask_b32_e64 v22, 0, 1, vcc_lo
	v_cmp_lt_i32_e32 vcc_lo, 5, v18
	v_cmp_gt_i32_e64 s1, 1, v32
	v_mul_f64_e32 v[16:17], s[8:9], v[16:17]
	v_mul_f16_e32 v23, v88, v35
	v_or_b32_e32 v18, v33, v22
	v_lshl_or_b32 v22, v32, 12, v28
	s_or_b32 vcc_lo, s0, vcc_lo
	v_and_or_b32 v24, 0x1ff, v25, v24
	v_fmac_f16_e32 v23, v86, v30
	v_lshrrev_b32_e32 v38, 8, v25
	v_cndmask_b32_e64 v18, v22, v18, s1
	s_wait_alu 0xfffe
	v_add_co_ci_u32_e32 v22, vcc_lo, 0, v29, vcc_lo
	v_cmp_ne_u32_e32 vcc_lo, 0, v20
	v_cmp_ne_u32_e64 s0, 0, v24
	v_and_b32_e32 v29, 7, v18
	v_cvt_f32_f16_e32 v23, v23
	v_lshrrev_b32_e32 v18, 2, v18
	s_wait_alu 0xfffd
	v_cndmask_b32_e64 v20, 0, 1, vcc_lo
	v_cmp_gt_i32_e32 vcc_lo, 31, v31
	s_wait_alu 0xf1ff
	v_cndmask_b32_e64 v24, 0, 1, s0
	v_cmp_eq_u32_e64 s0, 3, v29
	v_bfe_u32 v39, v25, 20, 11
	v_lshl_or_b32 v20, v20, 9, 0x7c00
	s_wait_alu 0xfffd
	v_cndmask_b32_e32 v33, 0x7c00, v22, vcc_lo
	v_cmp_lt_i32_e32 vcc_lo, 5, v29
	v_cvt_f64_f32_e32 v[22:23], v23
	v_and_or_b32 v24, 0xffe, v38, v24
	v_sub_nc_u32_e32 v29, 0x3f1, v39
	v_mul_f16_e32 v30, v88, v30
	s_or_b32 vcc_lo, s0, vcc_lo
	s_wait_alu 0xfffe
	v_add_co_ci_u32_e32 v18, vcc_lo, 0, v18, vcc_lo
	v_cmp_ne_u32_e32 vcc_lo, 0, v28
	v_or_b32_e32 v38, 0x1000, v24
	v_med3_i32 v29, v29, 0, 13
	v_fma_f16 v30, v86, v35, -v30
	s_wait_alu 0xfffd
	v_cndmask_b32_e64 v28, 0, 1, vcc_lo
	v_cmp_eq_u32_e32 vcc_lo, 0x40f, v31
	v_lshrrev_b32_e32 v31, v29, v38
	v_and_or_b32 v16, 0x1ff, v17, v16
	v_lshrrev_b32_e32 v35, 8, v17
	v_lshl_or_b32 v28, v28, 9, 0x7c00
	s_wait_alu 0xfffd
	v_cndmask_b32_e32 v20, v33, v20, vcc_lo
	v_cmp_gt_i32_e32 vcc_lo, 31, v32
	v_lshlrev_b32_e32 v29, v29, v31
	s_delay_alu instid0(VALU_DEP_3)
	v_and_or_b32 v33, 0x8000, v21, v20
	s_wait_alu 0xfffd
	v_cndmask_b32_e32 v18, 0x7c00, v18, vcc_lo
	v_cmp_ne_u32_e32 vcc_lo, 0, v16
	v_cvt_f32_f16_e32 v20, v30
	v_bfe_u32 v30, v17, 20, 11
	v_lshrrev_b32_e32 v17, 16, v17
	s_wait_alu 0xfffd
	v_cndmask_b32_e64 v16, 0, 1, vcc_lo
	v_cmp_ne_u32_e32 vcc_lo, v29, v38
	v_add_nc_u32_e32 v38, 0xfffffc10, v39
	v_cvt_f64_f32_e32 v[20:21], v20
	s_delay_alu instid0(VALU_DEP_4)
	v_and_or_b32 v16, 0xffe, v35, v16
	s_wait_alu 0xfffd
	v_cndmask_b32_e64 v29, 0, 1, vcc_lo
	v_cmp_eq_u32_e32 vcc_lo, 0x40f, v32
	v_mul_f64_e32 v[22:23], s[8:9], v[22:23]
	v_lshrrev_b32_e32 v32, 16, v19
	v_or_b32_e32 v35, 0x1000, v16
	v_or_b32_e32 v29, v31, v29
	s_wait_alu 0xfffd
	v_cndmask_b32_e32 v28, v18, v28, vcc_lo
	v_sub_nc_u32_e32 v18, 0x3f1, v30
	v_lshl_or_b32 v31, v38, 12, v24
	v_cmp_gt_i32_e32 vcc_lo, 1, v38
	v_add_nc_u32_e32 v30, 0xfffffc10, v30
	s_delay_alu instid0(VALU_DEP_4)
	v_med3_i32 v39, v18, 0, 13
	v_lshlrev_b64_e32 v[18:19], 2, v[26:27]
	s_wait_alu 0xfffd
	v_cndmask_b32_e32 v29, v31, v29, vcc_lo
	v_and_or_b32 v26, 0x8000, v32, v28
	v_and_b32_e32 v27, 0xffff, v33
	v_lshrrev_b32_e32 v28, v39, v35
	v_lshrrev_b32_e32 v33, 16, v15
	v_and_b32_e32 v31, 7, v29
	v_add_co_u32 v18, vcc_lo, v36, v18
	v_lshl_or_b32 v32, v26, 16, v27
	v_lshlrev_b32_e32 v26, v39, v28
	s_wait_alu 0xfffd
	v_add_co_ci_u32_e32 v19, vcc_lo, v37, v19, vcc_lo
	v_cmp_lt_i32_e32 vcc_lo, 5, v31
	v_cmp_eq_u32_e64 s0, 3, v31
	v_lshrrev_b32_e32 v27, 2, v29
	v_cmp_ne_u32_e64 s1, v26, v35
	v_mul_f16_e32 v29, v87, v33
	v_lshrrev_b32_e32 v37, 16, v25
	s_or_b32 vcc_lo, s0, vcc_lo
	global_store_b32 v[18:19], v34, off
	s_wait_alu 0xfffe
	v_add_co_ci_u32_e32 v27, vcc_lo, 0, v27, vcc_lo
	v_cndmask_b32_e64 v26, 0, 1, s1
	v_cmp_ne_u32_e32 vcc_lo, 0, v24
	v_fmac_f16_e32 v29, v83, v15
	v_mul_f64_e32 v[20:21], s[8:9], v[20:21]
	v_and_or_b32 v22, 0x1ff, v23, v22
	v_or_b32_e32 v26, v28, v26
	v_lshl_or_b32 v28, v30, 12, v16
	s_wait_alu 0xfffd
	v_cndmask_b32_e64 v24, 0, 1, vcc_lo
	v_cmp_gt_i32_e32 vcc_lo, 1, v30
	v_cvt_f32_f16_e32 v29, v29
	v_mul_f16_e32 v15, v87, v15
	v_lshrrev_b32_e32 v35, 8, v23
	v_lshl_or_b32 v24, v24, 9, 0x7c00
	s_wait_alu 0xfffd
	v_cndmask_b32_e32 v28, v28, v26, vcc_lo
	v_cmp_gt_i32_e32 vcc_lo, 31, v38
	v_bfe_u32 v36, v23, 20, 11
	v_fma_f16 v15, v83, v33, -v15
	v_lshrrev_b32_e32 v23, 16, v23
	s_wait_alu 0xfffd
	v_cndmask_b32_e32 v31, 0x7c00, v27, vcc_lo
	v_cvt_f64_f32_e32 v[26:27], v29
	v_cmp_ne_u32_e32 vcc_lo, 0, v22
	v_and_b32_e32 v29, 7, v28
	v_lshrrev_b32_e32 v28, 2, v28
	v_cvt_f32_f16_e32 v15, v15
	s_wait_alu 0xfffd
	v_cndmask_b32_e64 v22, 0, 1, vcc_lo
	v_cmp_eq_u32_e32 vcc_lo, 0x40f, v38
	v_cmp_eq_u32_e64 s0, 3, v29
	s_delay_alu instid0(VALU_DEP_3)
	v_and_or_b32 v22, 0xffe, v35, v22
	s_wait_alu 0xfffd
	v_cndmask_b32_e32 v31, v31, v24, vcc_lo
	v_cmp_lt_i32_e32 vcc_lo, 5, v29
	v_sub_nc_u32_e32 v24, 0x3f1, v36
	v_add_nc_u32_e32 v36, 0xfffffc10, v36
	v_or_b32_e32 v29, 0x1000, v22
	v_and_or_b32 v31, 0x8000, v37, v31
	s_or_b32 vcc_lo, s0, vcc_lo
	v_med3_i32 v24, v24, 0, 13
	s_wait_alu 0xfffe
	v_add_co_ci_u32_e32 v28, vcc_lo, 0, v28, vcc_lo
	v_cmp_ne_u32_e32 vcc_lo, 0, v16
	v_cvt_f64_f32_e32 v[15:16], v15
	v_lshrrev_b32_e32 v35, v24, v29
	v_and_or_b32 v20, 0x1ff, v21, v20
	s_wait_alu 0xfffd
	v_cndmask_b32_e64 v33, 0, 1, vcc_lo
	v_cmp_gt_i32_e32 vcc_lo, 31, v30
	v_lshlrev_b32_e32 v38, v24, v35
	s_delay_alu instid0(VALU_DEP_3)
	v_lshl_or_b32 v33, v33, 9, 0x7c00
	s_wait_alu 0xfffd
	v_cndmask_b32_e32 v28, 0x7c00, v28, vcc_lo
	v_add_co_u32 v24, vcc_lo, v18, s2
	s_wait_alu 0xfffd
	v_add_co_ci_u32_e32 v25, vcc_lo, s3, v19, vcc_lo
	v_cmp_eq_u32_e32 vcc_lo, 0x40f, v30
	v_mul_f64_e32 v[26:27], s[8:9], v[26:27]
	v_lshrrev_b32_e32 v30, 8, v21
	global_store_b32 v[24:25], v32, off
	s_wait_alu 0xfffd
	v_cndmask_b32_e32 v28, v28, v33, vcc_lo
	v_cmp_ne_u32_e32 vcc_lo, 0, v20
	v_bfe_u32 v33, v21, 20, 11
	v_lshrrev_b32_e32 v21, 16, v21
	s_delay_alu instid0(VALU_DEP_4)
	v_and_or_b32 v17, 0x8000, v17, v28
	s_wait_alu 0xfffd
	v_cndmask_b32_e64 v20, 0, 1, vcc_lo
	v_cmp_ne_u32_e32 vcc_lo, v38, v29
	v_and_b32_e32 v28, 0xffff, v31
	v_lshrrev_b32_e32 v31, 16, v14
	s_delay_alu instid0(VALU_DEP_4)
	v_and_or_b32 v30, 0xffe, v30, v20
	v_sub_nc_u32_e32 v20, 0x3f1, v33
	s_wait_alu 0xfffd
	v_cndmask_b32_e64 v29, 0, 1, vcc_lo
	v_cmp_gt_i32_e32 vcc_lo, 1, v36
	v_mul_f16_e32 v19, v85, v31
	v_or_b32_e32 v37, 0x1000, v30
	v_med3_i32 v20, v20, 0, 13
	v_or_b32_e32 v29, v35, v29
	v_lshl_or_b32 v35, v36, 12, v22
	v_mul_f64_e32 v[15:16], s[8:9], v[15:16]
	v_fmac_f16_e32 v19, v80, v14
	v_lshrrev_b32_e32 v34, v20, v37
	v_lshl_or_b32 v28, v17, 16, v28
	s_wait_alu 0xfffd
	v_cndmask_b32_e32 v29, v35, v29, vcc_lo
	v_add_co_u32 v17, vcc_lo, v24, s2
	v_lshlrev_b32_e32 v20, v20, v34
	v_cvt_f32_f16_e32 v19, v19
	s_delay_alu instid0(VALU_DEP_4)
	v_and_b32_e32 v32, 7, v29
	s_wait_alu 0xfffd
	v_add_co_ci_u32_e32 v18, vcc_lo, s3, v25, vcc_lo
	v_cmp_ne_u32_e64 s1, v20, v37
	v_lshrrev_b32_e32 v29, 2, v29
	v_cmp_lt_i32_e32 vcc_lo, 5, v32
	v_cmp_eq_u32_e64 s0, 3, v32
	v_and_or_b32 v26, 0x1ff, v27, v26
	s_wait_alu 0xf1ff
	v_cndmask_b32_e64 v24, 0, 1, s1
	v_add_nc_u32_e32 v25, 0xfffffc10, v33
	v_cvt_f64_f32_e32 v[19:20], v19
	s_or_b32 vcc_lo, s0, vcc_lo
	v_cmp_ne_u32_e64 s1, 0, v26
	s_wait_alu 0xfffe
	v_add_co_ci_u32_e32 v29, vcc_lo, 0, v29, vcc_lo
	v_or_b32_e32 v24, v34, v24
	v_lshl_or_b32 v32, v25, 12, v30
	v_cmp_gt_i32_e32 vcc_lo, 1, v25
	s_wait_alu 0xf1ff
	v_cndmask_b32_e64 v26, 0, 1, s1
	v_lshrrev_b32_e32 v33, 8, v27
	v_bfe_u32 v34, v27, 20, 11
	v_mul_f16_e32 v14, v85, v14
	s_wait_alu 0xfffd
	v_cndmask_b32_e32 v24, v32, v24, vcc_lo
	v_cmp_ne_u32_e32 vcc_lo, 0, v22
	v_and_or_b32 v26, 0xffe, v33, v26
	v_sub_nc_u32_e32 v32, 0x3f1, v34
	v_fma_f16 v14, v80, v31, -v14
	v_and_b32_e32 v33, 7, v24
	s_wait_alu 0xfffd
	v_cndmask_b32_e64 v22, 0, 1, vcc_lo
	v_cmp_gt_i32_e32 vcc_lo, 31, v36
	v_or_b32_e32 v35, 0x1000, v26
	v_med3_i32 v32, v32, 0, 13
	v_cmp_eq_u32_e64 s0, 3, v33
	v_lshrrev_b32_e32 v24, 2, v24
	s_wait_alu 0xfffd
	v_cndmask_b32_e32 v29, 0x7c00, v29, vcc_lo
	v_cmp_lt_i32_e32 vcc_lo, 5, v33
	v_lshrrev_b32_e32 v37, v32, v35
	v_and_or_b32 v15, 0x1ff, v16, v15
	v_lshrrev_b32_e32 v38, 8, v16
	v_bfe_u32 v39, v16, 20, 11
	s_or_b32 vcc_lo, s0, vcc_lo
	v_lshlrev_b32_e32 v31, v32, v37
	s_wait_alu 0xfffe
	v_add_co_ci_u32_e32 v24, vcc_lo, 0, v24, vcc_lo
	v_cmp_ne_u32_e32 vcc_lo, 0, v15
	v_cvt_f32_f16_e32 v32, v14
	v_lshl_or_b32 v22, v22, 9, 0x7c00
	global_store_b32 v[17:18], v28, off
	v_mul_f64_e32 v[14:15], s[8:9], v[19:20]
	s_wait_alu 0xfffd
	v_cndmask_b32_e64 v33, 0, 1, vcc_lo
	v_cmp_ne_u32_e32 vcc_lo, v31, v35
	v_cvt_f64_f32_e32 v[19:20], v32
	v_add_nc_u32_e32 v32, 0xfffffc10, v34
	v_sub_nc_u32_e32 v34, 0x3f1, v39
	v_and_or_b32 v33, 0xffe, v38, v33
	s_wait_alu 0xfffd
	v_cndmask_b32_e64 v31, 0, 1, vcc_lo
	v_cmp_ne_u32_e32 vcc_lo, 0, v30
	v_cmp_eq_u32_e64 s1, 0x40f, v32
	v_med3_i32 v34, v34, 0, 13
	v_or_b32_e32 v35, 0x1000, v33
	v_or_b32_e32 v31, v37, v31
	s_wait_alu 0xfffd
	v_cndmask_b32_e64 v30, 0, 1, vcc_lo
	v_cmp_gt_i32_e32 vcc_lo, 31, v25
	v_lshl_or_b32 v37, v32, 12, v26
	v_lshrrev_b32_e32 v38, v34, v35
	v_lshrrev_b32_e32 v27, 16, v27
	v_lshl_or_b32 v30, v30, 9, 0x7c00
	s_wait_alu 0xfffd
	v_cndmask_b32_e32 v24, 0x7c00, v24, vcc_lo
	v_cmp_eq_u32_e32 vcc_lo, 0x40f, v36
	s_wait_alu 0xfffd
	v_cndmask_b32_e32 v22, v29, v22, vcc_lo
	v_cmp_gt_i32_e32 vcc_lo, 1, v32
	s_delay_alu instid0(VALU_DEP_2)
	v_and_or_b32 v22, 0x8000, v23, v22
	s_wait_alu 0xfffd
	v_cndmask_b32_e32 v29, v37, v31, vcc_lo
	v_cmp_eq_u32_e32 vcc_lo, 0x40f, v25
	v_lshlrev_b32_e32 v25, v34, v38
	v_and_b32_e32 v28, 0xffff, v22
	s_wait_alu 0xfffd
	v_dual_cndmask_b32 v24, v24, v30 :: v_dual_and_b32 v23, 7, v29
	s_delay_alu instid0(VALU_DEP_3) | instskip(SKIP_2) | instid1(VALU_DEP_4)
	v_cmp_ne_u32_e64 s0, v25, v35
	v_lshrrev_b32_e32 v30, 16, v12
	v_add_nc_u32_e32 v25, 0xfffffc10, v39
	v_cmp_lt_i32_e32 vcc_lo, 5, v23
	v_and_or_b32 v24, 0x8000, v21, v24
	s_wait_alu 0xf1ff
	v_cndmask_b32_e64 v22, 0, 1, s0
	v_cmp_eq_u32_e64 s0, 3, v23
	v_lshrrev_b32_e32 v23, 2, v29
	v_mul_f16_e32 v21, v81, v30
	v_and_or_b32 v14, 0x1ff, v15, v14
	v_or_b32_e32 v22, v38, v22
	s_or_b32 vcc_lo, s0, vcc_lo
	v_lshl_or_b32 v29, v25, 12, v33
	s_wait_alu 0xfffe
	v_add_co_ci_u32_e32 v23, vcc_lo, 0, v23, vcc_lo
	v_fmac_f16_e32 v21, v78, v12
	v_cmp_gt_i32_e32 vcc_lo, 1, v25
	v_mul_f64_e32 v[19:20], s[8:9], v[19:20]
	v_lshrrev_b32_e32 v31, 8, v15
	v_bfe_u32 v34, v15, 20, 11
	v_cvt_f32_f16_e32 v21, v21
	s_wait_alu 0xfffd
	v_cndmask_b32_e32 v29, v29, v22, vcc_lo
	v_cmp_ne_u32_e32 vcc_lo, 0, v14
	v_lshl_or_b32 v28, v24, 16, v28
	v_mul_f16_e32 v12, v81, v12
	v_cvt_f64_f32_e32 v[21:22], v21
	v_and_b32_e32 v35, 7, v29
	s_wait_alu 0xfffd
	v_cndmask_b32_e64 v14, 0, 1, vcc_lo
	v_cmp_ne_u32_e32 vcc_lo, 0, v26
	v_fma_f16 v12, v78, v30, -v12
	v_cmp_eq_u32_e64 s0, 3, v35
	s_delay_alu instid0(VALU_DEP_4)
	v_and_or_b32 v14, 0xffe, v31, v14
	s_wait_alu 0xfffd
	v_cndmask_b32_e64 v26, 0, 1, vcc_lo
	v_cmp_gt_i32_e32 vcc_lo, 31, v32
	v_sub_nc_u32_e32 v31, 0x3f1, v34
	v_cvt_f32_f16_e32 v12, v12
	v_or_b32_e32 v36, 0x1000, v14
	v_lshl_or_b32 v26, v26, 9, 0x7c00
	s_wait_alu 0xfffd
	v_cndmask_b32_e32 v23, 0x7c00, v23, vcc_lo
	v_cmp_lt_i32_e32 vcc_lo, 5, v35
	v_med3_i32 v31, v31, 0, 13
	s_delay_alu instid0(VALU_DEP_3) | instskip(SKIP_2) | instid1(VALU_DEP_3)
	v_cndmask_b32_e64 v26, v23, v26, s1
	v_lshrrev_b32_e32 v23, 2, v29
	s_or_b32 vcc_lo, s0, vcc_lo
	v_lshrrev_b32_e32 v29, v31, v36
	s_delay_alu instid0(VALU_DEP_3)
	v_and_or_b32 v26, 0x8000, v27, v26
	s_wait_alu 0xfffe
	v_add_co_ci_u32_e32 v23, vcc_lo, 0, v23, vcc_lo
	v_cmp_gt_i32_e32 vcc_lo, 31, v25
	v_lshlrev_b32_e32 v24, v31, v29
	v_lshrrev_b32_e32 v27, 16, v16
	v_and_or_b32 v19, 0x1ff, v20, v19
	v_bfe_u32 v35, v20, 20, 11
	s_wait_alu 0xfffd
	v_cndmask_b32_e32 v31, 0x7c00, v23, vcc_lo
	v_cmp_ne_u32_e32 vcc_lo, 0, v33
	v_add_nc_u32_e32 v33, 0xfffffc10, v34
	v_lshrrev_b32_e32 v34, 8, v20
	v_lshrrev_b32_e32 v20, 16, v20
	s_wait_alu 0xfffd
	v_cndmask_b32_e64 v30, 0, 1, vcc_lo
	v_cmp_ne_u32_e32 vcc_lo, v24, v36
	v_mul_f64_e32 v[21:22], s[8:9], v[21:22]
	v_cvt_f64_f32_e32 v[23:24], v12
	s_delay_alu instid0(VALU_DEP_4) | instskip(SKIP_3) | instid1(VALU_DEP_2)
	v_lshl_or_b32 v30, v30, 9, 0x7c00
	s_wait_alu 0xfffd
	v_cndmask_b32_e64 v32, 0, 1, vcc_lo
	v_cmp_ne_u32_e32 vcc_lo, 0, v19
	v_or_b32_e32 v12, v29, v32
	s_wait_alu 0xfffd
	v_cndmask_b32_e64 v19, 0, 1, vcc_lo
	v_lshl_or_b32 v29, v33, 12, v14
	v_cmp_gt_i32_e32 vcc_lo, 1, v33
	s_delay_alu instid0(VALU_DEP_3)
	v_and_or_b32 v32, 0xffe, v34, v19
	v_sub_nc_u32_e32 v19, 0x3f1, v35
	s_wait_alu 0xfffd
	v_cndmask_b32_e32 v12, v29, v12, vcc_lo
	v_cmp_eq_u32_e32 vcc_lo, 0x40f, v25
	v_or_b32_e32 v29, 0x1000, v32
	v_med3_i32 v19, v19, 0, 13
	s_wait_alu 0xfffd
	v_cndmask_b32_e32 v25, v31, v30, vcc_lo
	v_add_co_u32 v16, vcc_lo, v17, s2
	s_delay_alu instid0(VALU_DEP_3)
	v_lshrrev_b32_e32 v31, v19, v29
	s_wait_alu 0xfffd
	v_add_co_ci_u32_e32 v17, vcc_lo, s3, v18, vcc_lo
	v_and_b32_e32 v30, 7, v12
	v_lshrrev_b32_e32 v12, 2, v12
	v_lshlrev_b32_e32 v18, v19, v31
	v_and_or_b32 v19, 0x8000, v27, v25
	v_and_b32_e32 v25, 0xffff, v26
	v_cmp_lt_i32_e32 vcc_lo, 5, v30
	v_cmp_eq_u32_e64 s0, 3, v30
	v_cmp_ne_u32_e64 s1, v18, v29
	v_add_nc_u32_e32 v26, 0xfffffc10, v35
	global_store_b32 v[16:17], v28, off
	v_and_or_b32 v21, 0x1ff, v22, v21
	s_or_b32 vcc_lo, s0, vcc_lo
	v_cndmask_b32_e64 v18, 0, 1, s1
	s_wait_alu 0xfffe
	v_add_co_ci_u32_e32 v12, vcc_lo, 0, v12, vcc_lo
	v_lshl_or_b32 v29, v26, 12, v32
	v_cmp_gt_i32_e32 vcc_lo, 1, v26
	v_or_b32_e32 v28, v31, v18
	v_lshl_or_b32 v25, v19, 16, v25
	v_mul_f64_e32 v[18:19], s[8:9], v[23:24]
	s_wait_dscnt 0x2
	v_lshrrev_b32_e32 v27, 16, v13
	v_lshrrev_b32_e32 v24, 8, v22
	s_wait_alu 0xfffd
	v_cndmask_b32_e32 v28, v29, v28, vcc_lo
	v_cmp_ne_u32_e32 vcc_lo, 0, v21
	v_bfe_u32 v29, v22, 20, 11
	v_mul_f16_e32 v23, v79, v27
	v_lshrrev_b32_e32 v22, 16, v22
	v_and_b32_e32 v30, 7, v28
	s_wait_alu 0xfffd
	v_cndmask_b32_e64 v21, 0, 1, vcc_lo
	v_cmp_gt_i32_e32 vcc_lo, 31, v33
	v_fmac_f16_e32 v23, v77, v13
	v_lshrrev_b32_e32 v28, 2, v28
	v_cmp_eq_u32_e64 s0, 3, v30
	v_and_or_b32 v21, 0xffe, v24, v21
	s_wait_alu 0xfffd
	v_cndmask_b32_e32 v12, 0x7c00, v12, vcc_lo
	v_cmp_ne_u32_e32 vcc_lo, 0, v14
	v_sub_nc_u32_e32 v24, 0x3f1, v29
	v_cvt_f32_f16_e32 v23, v23
	v_or_b32_e32 v31, 0x1000, v21
	v_mul_f16_e32 v13, v79, v13
	s_wait_alu 0xfffd
	v_cndmask_b32_e64 v14, 0, 1, vcc_lo
	v_cmp_lt_i32_e32 vcc_lo, 5, v30
	v_med3_i32 v34, v24, 0, 13
	v_cvt_f64_f32_e32 v[23:24], v23
	v_add_nc_u32_e32 v29, 0xfffffc10, v29
	v_lshl_or_b32 v14, v14, 9, 0x7c00
	s_or_b32 vcc_lo, s0, vcc_lo
	v_lshrrev_b32_e32 v30, v34, v31
	s_wait_alu 0xfffe
	v_add_co_ci_u32_e32 v28, vcc_lo, 0, v28, vcc_lo
	v_cmp_eq_u32_e32 vcc_lo, 0x40f, v33
	v_add_co_u32 v16, s1, v16, s4
	v_lshlrev_b32_e32 v34, v34, v30
	s_wait_alu 0xf1ff
	v_add_co_ci_u32_e64 v17, s1, s5, v17, s1
	s_wait_alu 0xfffd
	v_cndmask_b32_e32 v33, v12, v14, vcc_lo
	v_cmp_ne_u32_e32 vcc_lo, 0, v32
	v_fma_f16 v12, v77, v27, -v13
	v_and_or_b32 v18, 0x1ff, v19, v18
	v_bfe_u32 v32, v19, 20, 11
	s_wait_alu 0xfffd
	v_cndmask_b32_e64 v14, 0, 1, vcc_lo
	v_cmp_gt_i32_e32 vcc_lo, 31, v26
	v_cvt_f32_f16_e32 v12, v12
	s_delay_alu instid0(VALU_DEP_3)
	v_lshl_or_b32 v14, v14, 9, 0x7c00
	s_wait_alu 0xfffd
	v_cndmask_b32_e32 v27, 0x7c00, v28, vcc_lo
	v_cmp_ne_u32_e32 vcc_lo, v34, v31
	v_cvt_f64_f32_e32 v[12:13], v12
	v_lshrrev_b32_e32 v31, 8, v19
	v_lshrrev_b32_e32 v34, 16, v15
	s_wait_alu 0xfffd
	v_cndmask_b32_e64 v28, 0, 1, vcc_lo
	v_cmp_ne_u32_e32 vcc_lo, 0, v18
	s_delay_alu instid0(VALU_DEP_2) | instskip(SKIP_4) | instid1(VALU_DEP_3)
	v_or_b32_e32 v28, v30, v28
	s_wait_alu 0xfffd
	v_cndmask_b32_e64 v18, 0, 1, vcc_lo
	v_cmp_eq_u32_e32 vcc_lo, 0x40f, v26
	v_lshl_or_b32 v30, v29, 12, v21
	v_and_or_b32 v18, 0xffe, v31, v18
	s_wait_alu 0xfffd
	v_cndmask_b32_e32 v26, v27, v14, vcc_lo
	v_cmp_gt_i32_e32 vcc_lo, 1, v29
	v_sub_nc_u32_e32 v27, 0x3f1, v32
	v_mul_f64_e32 v[14:15], s[8:9], v[23:24]
	v_or_b32_e32 v23, 0x1000, v18
	v_and_or_b32 v26, 0x8000, v20, v26
	s_wait_alu 0xfffd
	v_cndmask_b32_e32 v28, v30, v28, vcc_lo
	v_med3_i32 v24, v27, 0, 13
	v_and_or_b32 v27, 0x8000, v34, v33
	s_delay_alu instid0(VALU_DEP_3) | instskip(NEXT) | instid1(VALU_DEP_3)
	v_and_b32_e32 v30, 7, v28
	v_lshrrev_b32_e32 v31, v24, v23
	s_delay_alu instid0(VALU_DEP_3) | instskip(NEXT) | instid1(VALU_DEP_3)
	v_and_b32_e32 v27, 0xffff, v27
	v_cmp_lt_i32_e32 vcc_lo, 5, v30
	v_cmp_eq_u32_e64 s0, 3, v30
	s_delay_alu instid0(VALU_DEP_4)
	v_lshlrev_b32_e32 v20, v24, v31
	v_lshrrev_b32_e32 v24, 2, v28
	v_lshrrev_b32_e32 v28, 16, v11
	v_lshl_or_b32 v26, v26, 16, v27
	s_or_b32 vcc_lo, s0, vcc_lo
	v_mul_f64_e32 v[12:13], s[8:9], v[12:13]
	s_wait_alu 0xfffe
	v_add_co_ci_u32_e32 v24, vcc_lo, 0, v24, vcc_lo
	v_cmp_ne_u32_e32 vcc_lo, v20, v23
	v_mul_f16_e32 v30, v76, v28
	v_add_nc_u32_e32 v23, 0xfffffc10, v32
	s_wait_alu 0xfffd
	v_cndmask_b32_e64 v20, 0, 1, vcc_lo
	v_cmp_ne_u32_e32 vcc_lo, 0, v21
	v_fmac_f16_e32 v30, v74, v11
	v_mul_f16_e32 v11, v76, v11
	s_delay_alu instid0(VALU_DEP_4)
	v_or_b32_e32 v20, v31, v20
	s_wait_alu 0xfffd
	v_cndmask_b32_e64 v21, 0, 1, vcc_lo
	v_cmp_gt_i32_e32 vcc_lo, 31, v29
	v_lshl_or_b32 v31, v23, 12, v18
	v_cvt_f32_f16_e32 v30, v30
	v_and_or_b32 v14, 0x1ff, v15, v14
	v_lshl_or_b32 v32, v21, 9, 0x7c00
	s_wait_alu 0xfffd
	v_cndmask_b32_e32 v24, 0x7c00, v24, vcc_lo
	v_cmp_gt_i32_e32 vcc_lo, 1, v23
	v_fma_f16 v11, v74, v28, -v11
	s_wait_alu 0xfffd
	v_cndmask_b32_e32 v31, v31, v20, vcc_lo
	v_cvt_f64_f32_e32 v[20:21], v30
	v_cmp_eq_u32_e32 vcc_lo, 0x40f, v29
	v_lshrrev_b32_e32 v29, 8, v15
	v_bfe_u32 v30, v15, 20, 11
	v_and_b32_e32 v27, 7, v31
	v_cvt_f32_f16_e32 v11, v11
	s_wait_alu 0xfffd
	v_cndmask_b32_e32 v24, v24, v32, vcc_lo
	v_cmp_ne_u32_e32 vcc_lo, 0, v14
	v_lshrrev_b32_e32 v15, 16, v15
	v_cmp_eq_u32_e64 s0, 3, v27
	s_delay_alu instid0(VALU_DEP_4)
	v_and_or_b32 v22, 0x8000, v22, v24
	s_wait_alu 0xfffd
	v_cndmask_b32_e64 v14, 0, 1, vcc_lo
	v_cmp_lt_i32_e32 vcc_lo, 5, v27
	v_lshrrev_b32_e32 v24, 2, v31
	v_sub_nc_u32_e32 v27, 0x3f1, v30
	v_and_or_b32 v28, 0x1ff, v13, v12
	v_and_or_b32 v14, 0xffe, v29, v14
	s_or_b32 vcc_lo, s0, vcc_lo
	v_cvt_f64_f32_e32 v[11:12], v11
	s_wait_alu 0xfffe
	v_add_co_ci_u32_e32 v24, vcc_lo, 0, v24, vcc_lo
	v_cmp_ne_u32_e32 vcc_lo, 0, v18
	v_or_b32_e32 v29, 0x1000, v14
	v_med3_i32 v27, v27, 0, 13
	v_lshrrev_b32_e32 v32, 8, v13
	v_bfe_u32 v33, v13, 20, 11
	s_wait_alu 0xfffd
	v_cndmask_b32_e64 v18, 0, 1, vcc_lo
	v_cmp_gt_i32_e32 vcc_lo, 31, v23
	v_lshrrev_b32_e32 v31, v27, v29
	v_and_b32_e32 v22, 0xffff, v22
	v_lshrrev_b32_e32 v13, 16, v13
	v_lshl_or_b32 v18, v18, 9, 0x7c00
	s_wait_alu 0xfffd
	v_cndmask_b32_e32 v24, 0x7c00, v24, vcc_lo
	v_cmp_ne_u32_e32 vcc_lo, 0, v28
	v_lshlrev_b32_e32 v27, v27, v31
	v_mul_f64_e32 v[20:21], s[8:9], v[20:21]
	s_wait_alu 0xfffd
	v_cndmask_b32_e64 v28, 0, 1, vcc_lo
	v_cmp_eq_u32_e32 vcc_lo, 0x40f, v23
	s_wait_alu 0xfffd
	v_cndmask_b32_e32 v23, v24, v18, vcc_lo
	v_cmp_ne_u32_e32 vcc_lo, v27, v29
	v_and_or_b32 v27, 0xffe, v32, v28
	v_sub_nc_u32_e32 v28, 0x3f1, v33
	v_add_nc_u32_e32 v24, 0xfffffc10, v30
	v_lshrrev_b32_e32 v29, 16, v19
	s_wait_alu 0xfffd
	v_cndmask_b32_e64 v18, 0, 1, vcc_lo
	v_or_b32_e32 v32, 0x1000, v27
	v_med3_i32 v28, v28, 0, 13
	v_and_or_b32 v23, 0x8000, v29, v23
	s_delay_alu instid0(VALU_DEP_4)
	v_or_b32_e32 v30, v31, v18
	v_add_co_u32 v18, vcc_lo, v16, s2
	s_wait_alu 0xfffd
	v_add_co_ci_u32_e32 v19, vcc_lo, s3, v17, vcc_lo
	v_lshl_or_b32 v31, v24, 12, v14
	v_lshrrev_b32_e32 v29, v28, v32
	v_cmp_gt_i32_e32 vcc_lo, 1, v24
	v_lshl_or_b32 v22, v23, 16, v22
	global_store_b32 v[16:17], v25, off
	global_store_b32 v[18:19], v26, off
	v_mul_f64_e32 v[11:12], s[8:9], v[11:12]
	s_wait_alu 0xfffd
	v_dual_cndmask_b32 v30, v31, v30 :: v_dual_lshlrev_b32 v23, v28, v29
	v_add_co_u32 v16, vcc_lo, v18, s2
	s_wait_alu 0xfffd
	v_add_co_ci_u32_e32 v17, vcc_lo, s3, v19, vcc_lo
	s_delay_alu instid0(VALU_DEP_3)
	v_and_b32_e32 v25, 7, v30
	v_cmp_ne_u32_e64 s0, v23, v32
	v_lshrrev_b32_e32 v26, 16, v10
	v_add_nc_u32_e32 v23, 0xfffffc10, v33
	v_and_or_b32 v20, 0x1ff, v21, v20
	v_cmp_lt_i32_e32 vcc_lo, 5, v25
	s_wait_alu 0xf1ff
	v_cndmask_b32_e64 v19, 0, 1, s0
	v_cmp_eq_u32_e64 s0, 3, v25
	v_lshrrev_b32_e32 v25, 2, v30
	v_mul_f16_e32 v18, v75, v26
	v_bfe_u32 v30, v21, 20, 11
	v_or_b32_e32 v28, v29, v19
	s_or_b32 vcc_lo, s0, vcc_lo
	v_lshl_or_b32 v29, v23, 12, v27
	s_wait_alu 0xfffe
	v_add_co_ci_u32_e32 v25, vcc_lo, 0, v25, vcc_lo
	v_cmp_gt_i32_e32 vcc_lo, 1, v23
	v_fmac_f16_e32 v18, v71, v10
	v_mul_f16_e32 v10, v75, v10
	global_store_b32 v[16:17], v22, off
	s_wait_alu 0xfffd
	v_cndmask_b32_e32 v28, v29, v28, vcc_lo
	v_cmp_ne_u32_e32 vcc_lo, 0, v20
	v_cvt_f32_f16_e32 v18, v18
	v_lshrrev_b32_e32 v29, 8, v21
	v_fma_f16 v10, v71, v26, -v10
	v_and_b32_e32 v31, 7, v28
	s_wait_alu 0xfffd
	v_cndmask_b32_e64 v20, 0, 1, vcc_lo
	v_cmp_ne_u32_e32 vcc_lo, 0, v14
	v_cvt_f64_f32_e32 v[18:19], v18
	v_lshrrev_b32_e32 v28, 2, v28
	v_cmp_eq_u32_e64 s0, 3, v31
	v_and_or_b32 v20, 0xffe, v29, v20
	s_wait_alu 0xfffd
	v_cndmask_b32_e64 v14, 0, 1, vcc_lo
	v_cmp_gt_i32_e32 vcc_lo, 31, v24
	v_sub_nc_u32_e32 v29, 0x3f1, v30
	v_and_or_b32 v11, 0x1ff, v12, v11
	v_or_b32_e32 v32, 0x1000, v20
	v_cvt_f32_f16_e32 v10, v10
	s_wait_alu 0xfffd
	v_cndmask_b32_e32 v25, 0x7c00, v25, vcc_lo
	v_cmp_lt_i32_e32 vcc_lo, 5, v31
	v_med3_i32 v29, v29, 0, 13
	v_lshrrev_b32_e32 v33, 8, v12
	v_bfe_u32 v34, v12, 20, 11
	v_lshl_or_b32 v14, v14, 9, 0x7c00
	s_or_b32 vcc_lo, s0, vcc_lo
	v_lshrrev_b32_e32 v31, v29, v32
	s_wait_alu 0xfffe
	v_add_co_ci_u32_e32 v26, vcc_lo, 0, v28, vcc_lo
	v_cmp_gt_i32_e32 vcc_lo, 31, v23
	v_add_nc_u32_e32 v30, 0xfffffc10, v30
	v_lshlrev_b32_e32 v28, v29, v31
	v_lshrrev_b32_e32 v21, 16, v21
	v_lshrrev_b32_e32 v12, 16, v12
	s_wait_alu 0xfffd
	v_cndmask_b32_e32 v26, 0x7c00, v26, vcc_lo
	v_cmp_ne_u32_e32 vcc_lo, 0, v11
	v_cvt_f64_f32_e32 v[10:11], v10
	s_wait_alu 0xfffd
	v_cndmask_b32_e64 v29, 0, 1, vcc_lo
	v_cmp_ne_u32_e32 vcc_lo, v28, v32
	v_sub_nc_u32_e32 v32, 0x3f1, v34
	s_delay_alu instid0(VALU_DEP_3)
	v_and_or_b32 v29, 0xffe, v33, v29
	s_wait_alu 0xfffd
	v_cndmask_b32_e64 v28, 0, 1, vcc_lo
	v_cmp_ne_u32_e32 vcc_lo, 0, v27
	v_mul_f64_e32 v[18:19], s[8:9], v[18:19]
	v_med3_i32 v32, v32, 0, 13
	v_lshl_or_b32 v33, v30, 12, v20
	v_or_b32_e32 v28, v31, v28
	s_wait_alu 0xfffd
	v_cndmask_b32_e64 v27, 0, 1, vcc_lo
	v_cmp_eq_u32_e32 vcc_lo, 0x40f, v24
	v_or_b32_e32 v31, 0x1000, v29
	s_delay_alu instid0(VALU_DEP_3) | instskip(SKIP_4) | instid1(VALU_DEP_3)
	v_lshl_or_b32 v27, v27, 9, 0x7c00
	s_wait_alu 0xfffd
	v_cndmask_b32_e32 v14, v25, v14, vcc_lo
	v_cmp_gt_i32_e32 vcc_lo, 1, v30
	v_lshrrev_b32_e32 v24, v32, v31
	v_and_or_b32 v14, 0x8000, v15, v14
	s_wait_alu 0xfffd
	v_cndmask_b32_e32 v25, v33, v28, vcc_lo
	v_cmp_eq_u32_e32 vcc_lo, 0x40f, v23
	s_delay_alu instid0(VALU_DEP_3) | instskip(NEXT) | instid1(VALU_DEP_3)
	v_and_b32_e32 v22, 0xffff, v14
	v_lshrrev_b32_e32 v14, 2, v25
	s_wait_alu 0xfffd
	v_cndmask_b32_e32 v23, v26, v27, vcc_lo
	v_lshlrev_b32_e32 v27, v32, v24
	v_and_b32_e32 v26, 7, v25
	v_mul_f64_e32 v[10:11], s[8:9], v[10:11]
	s_delay_alu instid0(VALU_DEP_4) | instskip(NEXT) | instid1(VALU_DEP_4)
	v_and_or_b32 v15, 0x8000, v13, v23
	v_cmp_ne_u32_e64 s1, v27, v31
	v_lshrrev_b32_e32 v23, 16, v9
	v_cmp_lt_i32_e32 vcc_lo, 5, v26
	v_cmp_eq_u32_e64 s0, 3, v26
	v_add_nc_u32_e32 v26, 0xfffffc10, v34
	s_wait_alu 0xf1ff
	v_cndmask_b32_e64 v13, 0, 1, s1
	v_lshl_or_b32 v22, v15, 16, v22
	s_or_b32 vcc_lo, s0, vcc_lo
	v_lshl_or_b32 v25, v26, 12, v29
	s_delay_alu instid0(VALU_DEP_3)
	v_or_b32_e32 v13, v24, v13
	v_mul_f16_e32 v24, v73, v23
	s_wait_alu 0xfffe
	v_add_co_ci_u32_e32 v27, vcc_lo, 0, v14, vcc_lo
	v_cmp_gt_i32_e32 vcc_lo, 1, v26
	v_lshrrev_b32_e32 v28, 8, v19
	v_fmac_f16_e32 v24, v70, v9
	v_bfe_u32 v31, v19, 20, 11
	v_mul_f16_e32 v9, v73, v9
	s_wait_alu 0xfffd
	v_cndmask_b32_e32 v25, v25, v13, vcc_lo
	v_and_or_b32 v13, 0x1ff, v19, v18
	v_cmp_ne_u32_e32 vcc_lo, 0, v20
	v_cvt_f32_f16_e32 v14, v24
	v_fma_f16 v9, v70, v23, -v9
	v_and_b32_e32 v20, 7, v25
	v_lshrrev_b32_e32 v19, 16, v19
	s_wait_alu 0xfffd
	v_cndmask_b32_e64 v18, 0, 1, vcc_lo
	v_cmp_ne_u32_e32 vcc_lo, 0, v13
	v_cvt_f64_f32_e32 v[13:14], v14
	v_cmp_eq_u32_e64 s0, 3, v20
	v_cvt_f32_f16_e32 v9, v9
	v_lshl_or_b32 v18, v18, 9, 0x7c00
	s_wait_alu 0xfffd
	v_cndmask_b32_e64 v24, 0, 1, vcc_lo
	v_cmp_gt_i32_e32 vcc_lo, 31, v30
	v_and_or_b32 v10, 0x1ff, v11, v10
	s_delay_alu instid0(VALU_DEP_3)
	v_and_or_b32 v24, 0xffe, v28, v24
	s_wait_alu 0xfffd
	v_cndmask_b32_e32 v27, 0x7c00, v27, vcc_lo
	v_cmp_lt_i32_e32 vcc_lo, 5, v20
	v_lshrrev_b32_e32 v20, 2, v25
	v_sub_nc_u32_e32 v28, 0x3f1, v31
	v_or_b32_e32 v25, 0x1000, v24
	s_or_b32 vcc_lo, s0, vcc_lo
	s_wait_alu 0xfffe
	v_add_co_ci_u32_e32 v20, vcc_lo, 0, v20, vcc_lo
	v_cmp_ne_u32_e32 vcc_lo, 0, v29
	v_med3_i32 v28, v28, 0, 13
	s_wait_alu 0xfffd
	v_cndmask_b32_e64 v29, 0, 1, vcc_lo
	v_cmp_eq_u32_e32 vcc_lo, 0x40f, v30
	v_bfe_u32 v30, v11, 20, 11
	s_delay_alu instid0(VALU_DEP_3) | instskip(SKIP_4) | instid1(VALU_DEP_3)
	v_lshl_or_b32 v29, v29, 9, 0x7c00
	s_wait_alu 0xfffd
	v_cndmask_b32_e32 v18, v27, v18, vcc_lo
	v_lshrrev_b32_e32 v27, v28, v25
	v_cmp_gt_i32_e32 vcc_lo, 31, v26
	v_and_or_b32 v18, 0x8000, v21, v18
	s_wait_alu 0xfffd
	s_delay_alu instid0(VALU_DEP_3)
	v_dual_cndmask_b32 v20, 0x7c00, v20 :: v_dual_lshlrev_b32 v21, v28, v27
	v_cmp_ne_u32_e32 vcc_lo, 0, v10
	v_mul_f64_e32 v[13:14], s[8:9], v[13:14]
	v_lshrrev_b32_e32 v28, 8, v11
	v_cvt_f64_f32_e32 v[9:10], v9
	v_and_b32_e32 v18, 0xffff, v18
	s_wait_alu 0xfffd
	v_cndmask_b32_e64 v23, 0, 1, vcc_lo
	v_cmp_ne_u32_e32 vcc_lo, v21, v25
	v_add_nc_u32_e32 v25, 0xfffffc10, v31
	v_lshrrev_b32_e32 v11, 16, v11
	s_delay_alu instid0(VALU_DEP_4)
	v_and_or_b32 v23, 0xffe, v28, v23
	s_wait_alu 0xfffd
	v_cndmask_b32_e64 v21, 0, 1, vcc_lo
	v_cmp_eq_u32_e32 vcc_lo, 0x40f, v26
	v_sub_nc_u32_e32 v26, 0x3f1, v30
	v_or_b32_e32 v28, 0x1000, v23
	s_delay_alu instid0(VALU_DEP_4)
	v_or_b32_e32 v21, v27, v21
	s_wait_alu 0xfffd
	v_cndmask_b32_e32 v20, v20, v29, vcc_lo
	v_lshl_or_b32 v27, v25, 12, v24
	v_cmp_gt_i32_e32 vcc_lo, 1, v25
	v_med3_i32 v26, v26, 0, 13
	s_delay_alu instid0(VALU_DEP_4) | instskip(SKIP_2) | instid1(VALU_DEP_3)
	v_and_or_b32 v12, 0x8000, v12, v20
	s_wait_alu 0xfffd
	v_cndmask_b32_e32 v21, v27, v21, vcc_lo
	v_lshrrev_b32_e32 v20, v26, v28
	v_add_co_u32 v15, vcc_lo, v16, s2
	s_wait_alu 0xfffd
	v_add_co_ci_u32_e32 v16, vcc_lo, s3, v17, vcc_lo
	v_and_b32_e32 v27, 7, v21
	v_lshlrev_b32_e32 v17, v26, v20
	v_lshl_or_b32 v26, v12, 16, v18
	v_lshrrev_b32_e32 v18, 16, v8
	v_lshrrev_b32_e32 v12, 2, v21
	v_cmp_lt_i32_e32 vcc_lo, 5, v27
	v_cmp_eq_u32_e64 s0, 3, v27
	v_cmp_ne_u32_e64 s1, v17, v28
	v_mul_f16_e32 v21, v72, v18
	v_add_nc_u32_e32 v27, 0xfffffc10, v30
	v_and_or_b32 v28, 0x1ff, v14, v13
	s_or_b32 vcc_lo, s0, vcc_lo
	v_cndmask_b32_e64 v17, 0, 1, s1
	s_wait_alu 0xfffe
	v_add_co_ci_u32_e32 v12, vcc_lo, 0, v12, vcc_lo
	v_fmac_f16_e32 v21, v69, v8
	v_cmp_ne_u32_e32 vcc_lo, 0, v24
	v_or_b32_e32 v17, v20, v17
	v_lshl_or_b32 v20, v27, 12, v23
	v_mul_f64_e32 v[9:10], s[8:9], v[9:10]
	v_cvt_f32_f16_e32 v13, v21
	s_wait_alu 0xfffd
	v_cndmask_b32_e64 v21, 0, 1, vcc_lo
	v_cmp_gt_i32_e32 vcc_lo, 1, v27
	v_mul_f16_e32 v8, v72, v8
	v_lshrrev_b32_e32 v29, 8, v14
	v_bfe_u32 v30, v14, 20, 11
	v_lshl_or_b32 v21, v21, 9, 0x7c00
	s_wait_alu 0xfffd
	v_cndmask_b32_e32 v17, v20, v17, vcc_lo
	v_cmp_gt_i32_e32 vcc_lo, 31, v25
	v_fma_f16 v8, v69, v18, -v8
	global_store_b32 v[15:16], v22, off
	v_lshrrev_b32_e32 v14, 16, v14
	v_and_b32_e32 v24, 7, v17
	s_wait_alu 0xfffd
	v_cndmask_b32_e32 v20, 0x7c00, v12, vcc_lo
	v_cvt_f64_f32_e32 v[12:13], v13
	v_cmp_ne_u32_e32 vcc_lo, 0, v28
	v_lshrrev_b32_e32 v17, 2, v17
	v_cmp_eq_u32_e64 s0, 3, v24
	v_cvt_f32_f16_e32 v8, v8
	s_wait_alu 0xfffd
	v_cndmask_b32_e64 v28, 0, 1, vcc_lo
	v_cmp_eq_u32_e32 vcc_lo, 0x40f, v25
	v_sub_nc_u32_e32 v25, 0x3f1, v30
	s_wait_alu 0xfffd
	v_cndmask_b32_e32 v20, v20, v21, vcc_lo
	v_cmp_lt_i32_e32 vcc_lo, 5, v24
	v_and_or_b32 v21, 0xffe, v29, v28
	v_med3_i32 v25, v25, 0, 13
	s_delay_alu instid0(VALU_DEP_4) | instskip(SKIP_1) | instid1(VALU_DEP_3)
	v_and_or_b32 v19, 0x8000, v19, v20
	s_or_b32 vcc_lo, s0, vcc_lo
	v_or_b32_e32 v24, 0x1000, v21
	s_wait_alu 0xfffe
	v_add_co_ci_u32_e32 v28, vcc_lo, 0, v17, vcc_lo
	v_cmp_ne_u32_e32 vcc_lo, 0, v23
	v_cvt_f64_f32_e32 v[17:18], v8
	v_and_or_b32 v31, 0x1ff, v10, v9
	v_lshrrev_b32_e32 v29, v25, v24
	v_and_b32_e32 v19, 0xffff, v19
	s_wait_alu 0xfffd
	v_cndmask_b32_e64 v23, 0, 1, vcc_lo
	v_cmp_gt_i32_e32 vcc_lo, 31, v27
	v_lshlrev_b32_e32 v25, v25, v29
	s_delay_alu instid0(VALU_DEP_3)
	v_lshl_or_b32 v23, v23, 9, 0x7c00
	s_wait_alu 0xfffd
	v_cndmask_b32_e32 v28, 0x7c00, v28, vcc_lo
	v_add_co_u32 v8, vcc_lo, v15, s4
	s_wait_alu 0xfffd
	v_add_co_ci_u32_e32 v9, vcc_lo, s5, v16, vcc_lo
	v_cmp_eq_u32_e32 vcc_lo, 0x40f, v27
	v_mul_f64_e32 v[12:13], s[8:9], v[12:13]
	v_lshrrev_b32_e32 v27, 8, v10
	global_store_b32 v[8:9], v26, off
	v_lshrrev_b32_e32 v26, 16, v7
	s_wait_alu 0xfffd
	v_cndmask_b32_e32 v20, v28, v23, vcc_lo
	v_cmp_ne_u32_e32 vcc_lo, 0, v31
	v_bfe_u32 v28, v10, 20, 11
	v_lshrrev_b32_e32 v10, 16, v10
	s_delay_alu instid0(VALU_DEP_4)
	v_and_or_b32 v11, 0x8000, v11, v20
	s_wait_alu 0xfffd
	v_cndmask_b32_e64 v23, 0, 1, vcc_lo
	v_cmp_ne_u32_e32 vcc_lo, v25, v24
	v_add_nc_u32_e32 v25, 0xfffffc10, v30
	v_lshl_or_b32 v19, v11, 16, v19
	s_delay_alu instid0(VALU_DEP_4)
	v_and_or_b32 v23, 0xffe, v27, v23
	s_wait_alu 0xfffd
	v_cndmask_b32_e64 v24, 0, 1, vcc_lo
	v_sub_nc_u32_e32 v27, 0x3f1, v28
	v_cmp_gt_i32_e32 vcc_lo, 1, v25
	v_or_b32_e32 v20, 0x1000, v23
	s_delay_alu instid0(VALU_DEP_4)
	v_or_b32_e32 v24, v29, v24
	v_lshl_or_b32 v29, v25, 12, v21
	v_med3_i32 v27, v27, 0, 13
	v_mul_f64_e32 v[15:16], s[8:9], v[17:18]
	v_mul_f16_e32 v17, v68, v26
	s_wait_alu 0xfffd
	v_cndmask_b32_e32 v24, v29, v24, vcc_lo
	v_lshrrev_b32_e32 v22, v27, v20
	v_add_co_u32 v8, vcc_lo, v8, s2
	s_wait_alu 0xfffd
	v_add_co_ci_u32_e32 v9, vcc_lo, s3, v9, vcc_lo
	v_and_b32_e32 v11, 7, v24
	v_lshlrev_b32_e32 v27, v27, v22
	v_fmac_f16_e32 v17, v66, v7
	v_mul_f16_e32 v7, v68, v7
	global_store_b32 v[8:9], v19, off
	v_cmp_lt_i32_e32 vcc_lo, 5, v11
	v_cmp_eq_u32_e64 s0, 3, v11
	v_lshrrev_b32_e32 v11, 2, v24
	v_cmp_ne_u32_e64 s1, v27, v20
	v_and_or_b32 v24, 0x1ff, v13, v12
	v_cvt_f32_f16_e32 v12, v17
	s_or_b32 vcc_lo, s0, vcc_lo
	v_add_nc_u32_e32 v20, 0xfffffc10, v28
	s_wait_alu 0xfffe
	v_add_co_ci_u32_e32 v17, vcc_lo, 0, v11, vcc_lo
	v_cndmask_b32_e64 v18, 0, 1, s1
	v_cmp_ne_u32_e32 vcc_lo, 0, v24
	v_lshrrev_b32_e32 v24, 8, v13
	v_bfe_u32 v27, v13, 20, 11
	v_lshl_or_b32 v28, v20, 12, v23
	v_or_b32_e32 v18, v22, v18
	s_wait_alu 0xfffd
	v_cndmask_b32_e64 v22, 0, 1, vcc_lo
	v_cmp_ne_u32_e32 vcc_lo, 0, v21
	v_cvt_f64_f32_e32 v[11:12], v12
	v_fma_f16 v7, v66, v26, -v7
	s_delay_alu instid0(VALU_DEP_4)
	v_and_or_b32 v22, 0xffe, v24, v22
	s_wait_alu 0xfffd
	v_cndmask_b32_e64 v21, 0, 1, vcc_lo
	v_cmp_gt_i32_e32 vcc_lo, 1, v20
	v_sub_nc_u32_e32 v24, 0x3f1, v27
	v_cvt_f32_f16_e32 v7, v7
	v_or_b32_e32 v29, 0x1000, v22
	v_and_or_b32 v15, 0x1ff, v16, v15
	s_wait_alu 0xfffd
	v_cndmask_b32_e32 v18, v28, v18, vcc_lo
	v_cmp_gt_i32_e32 vcc_lo, 31, v25
	v_lshrrev_b32_e32 v31, 8, v16
	v_bfe_u32 v32, v16, 20, 11
	v_cmp_ne_u32_e64 s1, 0, v15
	v_lshl_or_b32 v21, v21, 9, 0x7c00
	s_wait_alu 0xfffd
	v_cndmask_b32_e32 v28, 0x7c00, v17, vcc_lo
	v_med3_i32 v17, v24, 0, 13
	v_and_b32_e32 v24, 7, v18
	s_wait_alu 0xf1ff
	v_cndmask_b32_e64 v15, 0, 1, s1
	v_add_nc_u32_e32 v27, 0xfffffc10, v27
	v_lshrrev_b32_e32 v16, 16, v16
	v_lshrrev_b32_e32 v30, v17, v29
	v_cmp_lt_i32_e32 vcc_lo, 5, v24
	v_cmp_eq_u32_e64 s0, 3, v24
	v_lshrrev_b32_e32 v24, 2, v18
	v_cmp_eq_u32_e64 s1, 0x40f, v27
	v_lshlrev_b32_e32 v26, v17, v30
	v_cvt_f64_f32_e32 v[17:18], v7
	s_or_b32 vcc_lo, s0, vcc_lo
	s_wait_alu 0xfffe
	v_add_co_ci_u32_e32 v7, vcc_lo, 0, v24, vcc_lo
	v_cmp_ne_u32_e32 vcc_lo, v26, v29
	v_and_or_b32 v26, 0xffe, v31, v15
	v_sub_nc_u32_e32 v15, 0x3f1, v32
	s_wait_alu 0xfffd
	v_cndmask_b32_e64 v24, 0, 1, vcc_lo
	v_cmp_ne_u32_e32 vcc_lo, 0, v23
	v_mul_f64_e32 v[11:12], s[8:9], v[11:12]
	v_or_b32_e32 v29, 0x1000, v26
	v_med3_i32 v15, v15, 0, 13
	v_or_b32_e32 v24, v30, v24
	s_wait_alu 0xfffd
	v_cndmask_b32_e64 v23, 0, 1, vcc_lo
	v_cmp_gt_i32_e32 vcc_lo, 31, v20
	v_lshl_or_b32 v30, v27, 12, v22
	v_lshrrev_b32_e32 v31, v15, v29
	s_delay_alu instid0(VALU_DEP_4)
	v_lshl_or_b32 v23, v23, 9, 0x7c00
	s_wait_alu 0xfffd
	v_cndmask_b32_e32 v7, 0x7c00, v7, vcc_lo
	v_cmp_eq_u32_e32 vcc_lo, 0x40f, v25
	v_lshlrev_b32_e32 v15, v15, v31
	s_wait_alu 0xfffd
	v_cndmask_b32_e32 v21, v28, v21, vcc_lo
	v_cmp_gt_i32_e32 vcc_lo, 1, v27
	s_delay_alu instid0(VALU_DEP_2)
	v_and_or_b32 v14, 0x8000, v14, v21
	s_wait_alu 0xfffd
	v_cndmask_b32_e32 v24, v30, v24, vcc_lo
	v_cmp_eq_u32_e32 vcc_lo, 0x40f, v20
	v_add_nc_u32_e32 v21, 0xfffffc10, v32
	v_and_b32_e32 v19, 0xffff, v14
	s_wait_alu 0xfffd
	v_dual_cndmask_b32 v7, v7, v23 :: v_dual_and_b32 v20, 7, v24
	v_cmp_ne_u32_e32 vcc_lo, v15, v29
	v_mul_f64_e32 v[14:15], s[8:9], v[17:18]
	v_lshrrev_b32_e32 v18, 16, v5
	s_delay_alu instid0(VALU_DEP_4)
	v_cmp_eq_u32_e64 s0, 3, v20
	v_and_or_b32 v7, 0x8000, v10, v7
	s_wait_alu 0xfffd
	v_cndmask_b32_e64 v10, 0, 1, vcc_lo
	v_cmp_lt_i32_e32 vcc_lo, 5, v20
	v_lshrrev_b32_e32 v20, 2, v24
	v_lshl_or_b32 v17, v21, 12, v26
	v_mul_f16_e32 v23, v67, v18
	v_or_b32_e32 v10, v31, v10
	s_or_b32 vcc_lo, s0, vcc_lo
	v_and_or_b32 v11, 0x1ff, v12, v11
	s_wait_alu 0xfffe
	v_add_co_ci_u32_e32 v20, vcc_lo, 0, v20, vcc_lo
	v_cmp_ne_u32_e32 vcc_lo, 0, v22
	v_fmac_f16_e32 v23, v64, v5
	v_bfe_u32 v28, v12, 20, 11
	v_mul_f16_e32 v5, v67, v5
	s_wait_alu 0xfffd
	v_cndmask_b32_e64 v22, 0, 1, vcc_lo
	v_cmp_gt_i32_e32 vcc_lo, 1, v21
	s_delay_alu instid0(VALU_DEP_3) | instskip(NEXT) | instid1(VALU_DEP_3)
	v_fma_f16 v5, v64, v18, -v5
	v_lshl_or_b32 v22, v22, 9, 0x7c00
	s_wait_alu 0xfffd
	v_cndmask_b32_e32 v17, v17, v10, vcc_lo
	v_cmp_gt_i32_e32 vcc_lo, 31, v27
	v_cvt_f32_f16_e32 v10, v23
	v_lshrrev_b32_e32 v23, 8, v12
	v_cvt_f32_f16_e32 v5, v5
	s_wait_alu 0xfffd
	v_dual_cndmask_b32 v20, 0x7c00, v20 :: v_dual_and_b32 v25, 7, v17
	v_cmp_ne_u32_e32 vcc_lo, 0, v11
	v_cvt_f64_f32_e32 v[10:11], v10
	v_lshrrev_b32_e32 v17, 2, v17
	s_delay_alu instid0(VALU_DEP_4)
	v_cmp_eq_u32_e64 s0, 3, v25
	v_cndmask_b32_e64 v20, v20, v22, s1
	s_wait_alu 0xfffd
	v_cndmask_b32_e64 v24, 0, 1, vcc_lo
	v_cmp_lt_i32_e32 vcc_lo, 5, v25
	v_and_or_b32 v14, 0x1ff, v15, v14
	v_lshrrev_b32_e32 v29, 8, v15
	v_bfe_u32 v30, v15, 20, 11
	v_and_or_b32 v23, 0xffe, v23, v24
	s_or_b32 vcc_lo, s0, vcc_lo
	v_sub_nc_u32_e32 v24, 0x3f1, v28
	s_wait_alu 0xfffe
	v_add_co_ci_u32_e32 v17, vcc_lo, 0, v17, vcc_lo
	v_cmp_ne_u32_e32 vcc_lo, 0, v26
	v_or_b32_e32 v22, 0x1000, v23
	v_med3_i32 v24, v24, 0, 13
	v_lshrrev_b32_e32 v26, 16, v13
	v_lshrrev_b32_e32 v12, 16, v12
	s_wait_alu 0xfffd
	v_cndmask_b32_e64 v25, 0, 1, vcc_lo
	v_cmp_gt_i32_e32 vcc_lo, 31, v21
	v_lshrrev_b32_e32 v18, v24, v22
	v_and_or_b32 v20, 0x8000, v26, v20
	v_lshrrev_b32_e32 v15, 16, v15
	v_lshl_or_b32 v25, v25, 9, 0x7c00
	s_wait_alu 0xfffd
	v_cndmask_b32_e32 v17, 0x7c00, v17, vcc_lo
	v_cmp_ne_u32_e32 vcc_lo, 0, v14
	v_cvt_f64_f32_e32 v[13:14], v5
	v_lshlrev_b32_e32 v5, v24, v18
	v_sub_nc_u32_e32 v24, 0x3f1, v30
	v_and_b32_e32 v20, 0xffff, v20
	s_wait_alu 0xfffd
	v_cndmask_b32_e64 v27, 0, 1, vcc_lo
	v_cmp_eq_u32_e32 vcc_lo, 0x40f, v21
	v_med3_i32 v24, v24, 0, 13
	s_delay_alu instid0(VALU_DEP_3)
	v_and_or_b32 v21, 0xffe, v29, v27
	s_wait_alu 0xfffd
	v_cndmask_b32_e32 v17, v17, v25, vcc_lo
	v_cmp_ne_u32_e32 vcc_lo, v5, v22
	v_add_nc_u32_e32 v22, 0xfffffc10, v28
	v_mul_f64_e32 v[10:11], s[8:9], v[10:11]
	v_or_b32_e32 v25, 0x1000, v21
	s_wait_alu 0xfffd
	v_cndmask_b32_e64 v5, 0, 1, vcc_lo
	v_cmp_gt_i32_e32 vcc_lo, 1, v22
	s_delay_alu instid0(VALU_DEP_3) | instskip(NEXT) | instid1(VALU_DEP_3)
	v_lshrrev_b32_e32 v26, v24, v25
	v_or_b32_e32 v5, v18, v5
	v_lshl_or_b32 v18, v22, 12, v23
	s_wait_alu 0xfffd
	s_delay_alu instid0(VALU_DEP_1)
	v_cndmask_b32_e32 v5, v18, v5, vcc_lo
	v_lshl_or_b32 v18, v7, 16, v19
	v_and_or_b32 v19, 0x8000, v16, v17
	v_lshlrev_b32_e32 v16, v24, v26
	v_add_co_u32 v7, vcc_lo, v8, s2
	v_and_b32_e32 v17, 7, v5
	s_wait_dscnt 0x1
	v_lshrrev_b32_e32 v24, 16, v6
	v_cmp_ne_u32_e64 s0, v16, v25
	s_wait_alu 0xfffd
	v_add_co_ci_u32_e32 v8, vcc_lo, s3, v9, vcc_lo
	v_cmp_lt_i32_e32 vcc_lo, 5, v17
	v_lshrrev_b32_e32 v5, 2, v5
	s_wait_alu 0xf1ff
	v_cndmask_b32_e64 v16, 0, 1, s0
	v_cmp_eq_u32_e64 s0, 3, v17
	v_mul_f16_e32 v9, v65, v24
	v_add_nc_u32_e32 v25, 0xfffffc10, v30
	v_mul_f64_e32 v[13:14], s[8:9], v[13:14]
	v_or_b32_e32 v26, v26, v16
	s_or_b32 vcc_lo, s0, vcc_lo
	v_fmac_f16_e32 v9, v62, v6
	s_wait_alu 0xfffe
	v_add_co_ci_u32_e32 v5, vcc_lo, 0, v5, vcc_lo
	v_cmp_ne_u32_e32 vcc_lo, 0, v23
	v_lshl_or_b32 v27, v25, 12, v21
	v_cvt_f32_f16_e32 v9, v9
	v_and_or_b32 v10, 0x1ff, v11, v10
	v_lshl_or_b32 v19, v19, 16, v20
	s_wait_alu 0xfffd
	v_cndmask_b32_e64 v23, 0, 1, vcc_lo
	v_cmp_gt_i32_e32 vcc_lo, 1, v25
	v_cvt_f64_f32_e32 v[16:17], v9
	v_mul_f16_e32 v6, v65, v6
	s_delay_alu instid0(VALU_DEP_4) | instskip(SKIP_4) | instid1(VALU_DEP_3)
	v_lshl_or_b32 v23, v23, 9, 0x7c00
	s_wait_alu 0xfffd
	v_cndmask_b32_e32 v9, v27, v26, vcc_lo
	v_cmp_gt_i32_e32 vcc_lo, 31, v22
	v_fma_f16 v6, v62, v24, -v6
	v_and_b32_e32 v20, 7, v9
	s_wait_alu 0xfffd
	v_cndmask_b32_e32 v5, 0x7c00, v5, vcc_lo
	v_cmp_eq_u32_e32 vcc_lo, 0x40f, v22
	v_lshrrev_b32_e32 v22, 8, v11
	v_cvt_f32_f16_e32 v6, v6
	v_cmp_eq_u32_e64 s0, 3, v20
	s_wait_alu 0xfffd
	v_cndmask_b32_e32 v5, v5, v23, vcc_lo
	v_cmp_ne_u32_e32 vcc_lo, 0, v10
	v_bfe_u32 v23, v11, 20, 11
	v_lshrrev_b32_e32 v11, 16, v11
	s_wait_alu 0xfffd
	v_cndmask_b32_e64 v10, 0, 1, vcc_lo
	v_cmp_lt_i32_e32 vcc_lo, 5, v20
	v_and_or_b32 v13, 0x1ff, v14, v13
	s_delay_alu instid0(VALU_DEP_3)
	v_and_or_b32 v20, 0xffe, v22, v10
	v_and_or_b32 v22, 0x8000, v12, v5
	v_lshrrev_b32_e32 v5, 2, v9
	s_or_b32 vcc_lo, s0, vcc_lo
	v_sub_nc_u32_e32 v10, 0x3f1, v23
	v_or_b32_e32 v12, 0x1000, v20
	v_add_nc_u32_e32 v23, 0xfffffc10, v23
	s_wait_alu 0xfffe
	v_add_co_ci_u32_e32 v5, vcc_lo, 0, v5, vcc_lo
	v_cmp_ne_u32_e32 vcc_lo, 0, v21
	v_med3_i32 v9, v10, 0, 13
	s_wait_alu 0xfffd
	v_cndmask_b32_e64 v10, 0, 1, vcc_lo
	v_cmp_gt_i32_e32 vcc_lo, 31, v25
	s_delay_alu instid0(VALU_DEP_3) | instskip(NEXT) | instid1(VALU_DEP_3)
	v_lshrrev_b32_e32 v24, v9, v12
	v_lshl_or_b32 v27, v10, 9, 0x7c00
	s_wait_alu 0xfffd
	v_cndmask_b32_e32 v21, 0x7c00, v5, vcc_lo
	v_cvt_f64_f32_e32 v[5:6], v6
	v_lshlrev_b32_e32 v26, v9, v24
	v_mul_f64_e32 v[9:10], s[8:9], v[16:17]
	v_cmp_ne_u32_e32 vcc_lo, 0, v13
	v_lshrrev_b32_e32 v16, 8, v14
	v_bfe_u32 v17, v14, 20, 11
	v_lshrrev_b32_e32 v14, 16, v14
	s_wait_alu 0xfffd
	v_cndmask_b32_e64 v13, 0, 1, vcc_lo
	v_cmp_eq_u32_e32 vcc_lo, 0x40f, v25
	v_lshl_or_b32 v25, v23, 12, v20
	s_delay_alu instid0(VALU_DEP_3)
	v_and_or_b32 v16, 0xffe, v16, v13
	s_wait_alu 0xfffd
	v_cndmask_b32_e32 v21, v21, v27, vcc_lo
	v_cmp_ne_u32_e32 vcc_lo, v26, v12
	v_sub_nc_u32_e32 v13, 0x3f1, v17
	v_add_nc_u32_e32 v17, 0xfffffc10, v17
	v_or_b32_e32 v26, 0x1000, v16
	v_and_or_b32 v15, 0x8000, v15, v21
	s_wait_alu 0xfffd
	v_cndmask_b32_e64 v12, 0, 1, vcc_lo
	v_med3_i32 v27, v13, 0, 13
	v_and_b32_e32 v21, 0xffff, v22
	s_delay_alu instid0(VALU_DEP_3) | instskip(SKIP_1) | instid1(VALU_DEP_4)
	v_or_b32_e32 v24, v24, v12
	v_add_co_u32 v12, vcc_lo, v7, s2
	v_lshrrev_b32_e32 v22, v27, v26
	s_wait_alu 0xfffd
	v_add_co_ci_u32_e32 v13, vcc_lo, s3, v8, vcc_lo
	v_cmp_gt_i32_e32 vcc_lo, 1, v23
	global_store_b32 v[7:8], v18, off
	global_store_b32 v[12:13], v19, off
	v_lshl_or_b32 v15, v15, 16, v21
	v_lshlrev_b32_e32 v18, v27, v22
	v_lshrrev_b32_e32 v21, 16, v4
	s_wait_alu 0xfffd
	v_cndmask_b32_e32 v24, v25, v24, vcc_lo
	v_mul_f64_e32 v[5:6], s[8:9], v[5:6]
	v_add_co_u32 v7, vcc_lo, v12, s4
	v_mul_f16_e32 v12, v63, v21
	v_cmp_ne_u32_e64 s0, v18, v26
	v_and_or_b32 v9, 0x1ff, v10, v9
	v_and_b32_e32 v19, 7, v24
	s_wait_alu 0xfffd
	v_add_co_ci_u32_e32 v8, vcc_lo, s5, v13, vcc_lo
	s_wait_alu 0xf1ff
	v_cndmask_b32_e64 v13, 0, 1, s0
	v_fmac_f16_e32 v12, v61, v4
	v_cmp_ne_u32_e64 s1, 0, v9
	v_cmp_lt_i32_e32 vcc_lo, 5, v19
	v_cmp_eq_u32_e64 s0, 3, v19
	v_lshrrev_b32_e32 v18, 2, v24
	v_or_b32_e32 v19, v22, v13
	v_cvt_f32_f16_e32 v12, v12
	v_lshl_or_b32 v22, v17, 12, v16
	s_wait_alu 0xf1ff
	v_cndmask_b32_e64 v9, 0, 1, s1
	v_cmp_gt_i32_e64 s1, 1, v17
	s_or_b32 vcc_lo, s0, vcc_lo
	v_lshrrev_b32_e32 v24, 8, v10
	s_wait_alu 0xfffe
	v_add_co_ci_u32_e32 v18, vcc_lo, 0, v18, vcc_lo
	v_cvt_f64_f32_e32 v[12:13], v12
	v_cndmask_b32_e64 v19, v22, v19, s1
	v_cmp_ne_u32_e32 vcc_lo, 0, v20
	v_bfe_u32 v25, v10, 20, 11
	v_and_or_b32 v9, 0xffe, v24, v9
	v_mul_f16_e32 v4, v63, v4
	v_and_b32_e32 v24, 7, v19
	s_wait_alu 0xfffd
	v_cndmask_b32_e64 v20, 0, 1, vcc_lo
	v_cmp_gt_i32_e32 vcc_lo, 31, v23
	v_sub_nc_u32_e32 v22, 0x3f1, v25
	v_lshrrev_b32_e32 v19, 2, v19
	v_cmp_eq_u32_e64 s0, 3, v24
	v_or_b32_e32 v26, 0x1000, v9
	s_wait_alu 0xfffd
	v_cndmask_b32_e32 v18, 0x7c00, v18, vcc_lo
	v_cmp_lt_i32_e32 vcc_lo, 5, v24
	v_med3_i32 v22, v22, 0, 13
	v_fma_f16 v4, v61, v21, -v4
	v_and_or_b32 v21, 0x1ff, v6, v5
	v_lshrrev_b32_e32 v27, 8, v6
	s_or_b32 vcc_lo, s0, vcc_lo
	v_lshrrev_b32_e32 v24, v22, v26
	s_wait_alu 0xfffe
	v_add_co_ci_u32_e32 v19, vcc_lo, 0, v19, vcc_lo
	v_cmp_gt_i32_e32 vcc_lo, 31, v17
	v_cvt_f32_f16_e32 v4, v4
	v_lshlrev_b32_e32 v22, v22, v24
	v_bfe_u32 v28, v6, 20, 11
	v_lshl_or_b32 v20, v20, 9, 0x7c00
	s_wait_alu 0xfffd
	v_cndmask_b32_e32 v19, 0x7c00, v19, vcc_lo
	v_cmp_ne_u32_e32 vcc_lo, 0, v21
	v_cvt_f64_f32_e32 v[4:5], v4
	v_add_nc_u32_e32 v25, 0xfffffc10, v25
	global_store_b32 v[7:8], v15, off
	v_lshrrev_b32_e32 v6, 16, v6
	s_wait_alu 0xfffd
	v_cndmask_b32_e64 v21, 0, 1, vcc_lo
	v_cmp_ne_u32_e32 vcc_lo, v22, v26
	v_sub_nc_u32_e32 v26, 0x3f1, v28
	v_mul_f64_e32 v[12:13], s[8:9], v[12:13]
	s_delay_alu instid0(VALU_DEP_4)
	v_and_or_b32 v21, 0xffe, v27, v21
	s_wait_alu 0xfffd
	v_cndmask_b32_e64 v22, 0, 1, vcc_lo
	v_cmp_ne_u32_e32 vcc_lo, 0, v16
	v_lshl_or_b32 v27, v25, 12, v9
	v_med3_i32 v26, v26, 0, 13
	s_delay_alu instid0(VALU_DEP_4) | instskip(SKIP_4) | instid1(VALU_DEP_3)
	v_or_b32_e32 v22, v24, v22
	s_wait_alu 0xfffd
	v_cndmask_b32_e64 v16, 0, 1, vcc_lo
	v_cmp_eq_u32_e32 vcc_lo, 0x40f, v23
	v_or_b32_e32 v24, 0x1000, v21
	v_lshl_or_b32 v16, v16, 9, 0x7c00
	s_wait_alu 0xfffd
	v_cndmask_b32_e32 v18, v18, v20, vcc_lo
	v_cmp_gt_i32_e32 vcc_lo, 1, v25
	v_lshrrev_b32_e32 v20, v26, v24
	s_delay_alu instid0(VALU_DEP_3)
	v_and_or_b32 v11, 0x8000, v11, v18
	s_wait_alu 0xfffd
	v_cndmask_b32_e32 v22, v27, v22, vcc_lo
	v_cmp_eq_u32_e32 vcc_lo, 0x40f, v17
	v_lshrrev_b32_e32 v18, 16, v2
	v_and_b32_e32 v15, 0xffff, v11
	s_wait_alu 0xfffd
	v_dual_cndmask_b32 v16, v19, v16 :: v_dual_and_b32 v17, 7, v22
	v_lshlrev_b32_e32 v19, v26, v20
	v_lshrrev_b32_e32 v11, 2, v22
	s_delay_alu instid0(VALU_DEP_3) | instskip(SKIP_1) | instid1(VALU_DEP_4)
	v_cmp_lt_i32_e32 vcc_lo, 5, v17
	v_cmp_eq_u32_e64 s0, 3, v17
	v_cmp_ne_u32_e64 s1, v19, v24
	v_and_or_b32 v14, 0x8000, v14, v16
	v_add_nc_u32_e32 v17, 0xfffffc10, v28
	v_mul_f64_e32 v[4:5], s[8:9], v[4:5]
	s_or_b32 vcc_lo, s0, vcc_lo
	v_cndmask_b32_e64 v16, 0, 1, s1
	s_wait_alu 0xfffe
	v_add_co_ci_u32_e32 v11, vcc_lo, 0, v11, vcc_lo
	v_cmp_ne_u32_e32 vcc_lo, 0, v9
	v_lshl_or_b32 v19, v17, 12, v21
	v_or_b32_e32 v16, v20, v16
	v_and_or_b32 v12, 0x1ff, v13, v12
	v_mul_f16_e32 v20, v60, v18
	s_wait_alu 0xfffd
	v_cndmask_b32_e64 v9, 0, 1, vcc_lo
	v_cmp_gt_i32_e32 vcc_lo, 1, v17
	v_lshrrev_b32_e32 v22, 8, v13
	v_cmp_eq_u32_e64 s1, 0x40f, v25
	v_fmac_f16_e32 v20, v58, v2
	v_lshl_or_b32 v9, v9, 9, 0x7c00
	s_wait_alu 0xfffd
	v_cndmask_b32_e32 v16, v19, v16, vcc_lo
	v_cmp_gt_i32_e32 vcc_lo, 31, v25
	v_bfe_u32 v23, v13, 20, 11
	v_cvt_f32_f16_e32 v20, v20
	v_mul_f16_e32 v2, v60, v2
	v_lshrrev_b32_e32 v25, 16, v10
	s_wait_alu 0xfffd
	v_cndmask_b32_e32 v19, 0x7c00, v11, vcc_lo
	v_cmp_ne_u32_e32 vcc_lo, 0, v12
	v_and_b32_e32 v11, 7, v16
	v_fma_f16 v2, v58, v18, -v2
	s_wait_alu 0xf1ff
	v_cndmask_b32_e64 v19, v19, v9, s1
	s_wait_alu 0xfffd
	v_cndmask_b32_e64 v12, 0, 1, vcc_lo
	v_cmp_lt_i32_e32 vcc_lo, 5, v11
	v_cmp_eq_u32_e64 s0, 3, v11
	v_lshrrev_b32_e32 v9, 2, v16
	v_cvt_f32_f16_e32 v2, v2
	v_and_or_b32 v22, 0xffe, v22, v12
	v_cvt_f64_f32_e32 v[11:12], v20
	v_sub_nc_u32_e32 v20, 0x3f1, v23
	s_or_b32 vcc_lo, s0, vcc_lo
	v_and_or_b32 v19, 0x8000, v25, v19
	s_wait_alu 0xfffe
	v_add_co_ci_u32_e32 v9, vcc_lo, 0, v9, vcc_lo
	v_or_b32_e32 v16, 0x1000, v22
	v_med3_i32 v20, v20, 0, 13
	v_cmp_ne_u32_e32 vcc_lo, 0, v21
	v_and_or_b32 v4, 0x1ff, v5, v4
	v_lshrrev_b32_e32 v26, 8, v5
	v_bfe_u32 v27, v5, 20, 11
	v_lshrrev_b32_e32 v24, v20, v16
	s_wait_alu 0xfffd
	v_cndmask_b32_e64 v21, 0, 1, vcc_lo
	v_cmp_gt_i32_e32 vcc_lo, 31, v17
	v_lshrrev_b32_e32 v5, 16, v5
	v_lshlrev_b32_e32 v20, v20, v24
	s_delay_alu instid0(VALU_DEP_4)
	v_lshl_or_b32 v21, v21, 9, 0x7c00
	s_wait_alu 0xfffd
	v_cndmask_b32_e32 v18, 0x7c00, v9, vcc_lo
	v_cmp_ne_u32_e32 vcc_lo, 0, v4
	v_cvt_f64_f32_e32 v[9:10], v2
	s_wait_alu 0xfffd
	v_cndmask_b32_e64 v4, 0, 1, vcc_lo
	v_cmp_ne_u32_e32 vcc_lo, v20, v16
	v_add_nc_u32_e32 v16, 0xfffffc10, v23
	v_sub_nc_u32_e32 v20, 0x3f1, v27
	v_lshl_or_b32 v23, v14, 16, v15
	v_and_or_b32 v4, 0xffe, v26, v4
	s_wait_alu 0xfffd
	v_cndmask_b32_e64 v2, 0, 1, vcc_lo
	v_cmp_eq_u32_e32 vcc_lo, 0x40f, v17
	v_med3_i32 v20, v20, 0, 13
	v_and_b32_e32 v15, 0xffff, v19
	s_delay_alu instid0(VALU_DEP_4)
	v_or_b32_e32 v2, v24, v2
	s_wait_alu 0xfffd
	v_cndmask_b32_e32 v17, v18, v21, vcc_lo
	v_lshl_or_b32 v18, v16, 12, v22
	v_or_b32_e32 v21, 0x1000, v4
	v_cmp_gt_i32_e32 vcc_lo, 1, v16
	v_mul_f64_e32 v[11:12], s[8:9], v[11:12]
	v_and_or_b32 v14, 0x8000, v6, v17
	s_wait_alu 0xfffd
	v_cndmask_b32_e32 v2, v18, v2, vcc_lo
	v_lshrrev_b32_e32 v18, v20, v21
	v_add_co_u32 v6, vcc_lo, v7, s2
	s_wait_alu 0xfffd
	v_add_co_ci_u32_e32 v7, vcc_lo, s3, v8, vcc_lo
	s_delay_alu instid0(VALU_DEP_3) | instskip(SKIP_3) | instid1(VALU_DEP_4)
	v_lshlrev_b32_e32 v19, v20, v18
	v_and_b32_e32 v17, 7, v2
	v_lshrrev_b32_e32 v20, 16, v1
	v_lshrrev_b32_e32 v2, 2, v2
	v_cmp_ne_u32_e64 s1, v19, v21
	s_delay_alu instid0(VALU_DEP_4)
	v_cmp_lt_i32_e32 vcc_lo, 5, v17
	v_cmp_eq_u32_e64 s0, 3, v17
	v_mul_f16_e32 v17, v59, v20
	v_add_nc_u32_e32 v19, 0xfffffc10, v27
	s_wait_alu 0xf1ff
	v_cndmask_b32_e64 v8, 0, 1, s1
	v_lshl_or_b32 v21, v14, 16, v15
	s_or_b32 vcc_lo, s0, vcc_lo
	v_fmac_f16_e32 v17, v57, v1
	s_wait_alu 0xfffe
	v_add_co_ci_u32_e32 v2, vcc_lo, 0, v2, vcc_lo
	v_or_b32_e32 v18, v18, v8
	v_mul_f64_e32 v[8:9], s[8:9], v[9:10]
	v_cvt_f32_f16_e32 v10, v17
	v_cmp_ne_u32_e32 vcc_lo, 0, v22
	v_lshl_or_b32 v17, v19, 12, v4
	v_cmp_eq_u32_e64 s1, 0x40f, v16
	v_mul_f16_e32 v1, v59, v1
	v_cvt_f64_f32_e32 v[14:15], v10
	s_wait_alu 0xfffd
	v_cndmask_b32_e64 v22, 0, 1, vcc_lo
	v_cmp_gt_i32_e32 vcc_lo, 1, v19
	v_fma_f16 v1, v57, v20, -v1
	v_lshrrev_b32_e32 v25, 8, v12
	v_bfe_u32 v26, v12, 20, 11
	s_wait_alu 0xfffd
	v_cndmask_b32_e32 v17, v17, v18, vcc_lo
	v_and_or_b32 v18, 0x1ff, v12, v11
	v_cmp_gt_i32_e32 vcc_lo, 31, v16
	v_lshl_or_b32 v22, v22, 9, 0x7c00
	v_cvt_f32_f16_e32 v1, v1
	v_and_b32_e32 v24, 7, v17
	v_cmp_ne_u32_e64 s0, 0, v18
	s_wait_alu 0xfffd
	v_cndmask_b32_e32 v2, 0x7c00, v2, vcc_lo
	v_add_co_u32 v10, vcc_lo, v6, s2
	s_wait_alu 0xfffd
	v_add_co_ci_u32_e32 v11, vcc_lo, s3, v7, vcc_lo
	v_cmp_lt_i32_e32 vcc_lo, 5, v24
	s_wait_alu 0xf1ff
	v_cndmask_b32_e64 v18, 0, 1, s0
	v_cmp_eq_u32_e64 s0, 3, v24
	v_lshrrev_b32_e32 v16, 2, v17
	v_cndmask_b32_e64 v2, v2, v22, s1
	v_lshrrev_b32_e32 v24, 16, v13
	v_and_or_b32 v17, 0xffe, v25, v18
	s_or_b32 vcc_lo, s0, vcc_lo
	v_sub_nc_u32_e32 v18, 0x3f1, v26
	s_wait_alu 0xfffe
	v_add_co_ci_u32_e32 v16, vcc_lo, 0, v16, vcc_lo
	v_cmp_ne_u32_e32 vcc_lo, 0, v4
	v_or_b32_e32 v22, 0x1000, v17
	v_med3_i32 v18, v18, 0, 13
	v_and_or_b32 v8, 0x1ff, v9, v8
	v_lshrrev_b32_e32 v27, 8, v9
	s_wait_alu 0xfffd
	v_cndmask_b32_e64 v4, 0, 1, vcc_lo
	v_cmp_gt_i32_e32 vcc_lo, 31, v19
	v_lshrrev_b32_e32 v25, v18, v22
	v_mul_f64_e32 v[13:14], s[8:9], v[14:15]
	v_bfe_u32 v28, v9, 20, 11
	v_lshl_or_b32 v4, v4, 9, 0x7c00
	s_wait_alu 0xfffd
	v_cndmask_b32_e32 v20, 0x7c00, v16, vcc_lo
	v_cmp_ne_u32_e32 vcc_lo, 0, v8
	v_lshlrev_b32_e32 v18, v18, v25
	v_cvt_f64_f32_e32 v[15:16], v1
	v_and_or_b32 v2, 0x8000, v24, v2
	global_store_b32 v[6:7], v23, off
	global_store_b32 v[10:11], v21, off
	s_wait_alu 0xfffd
	v_cndmask_b32_e64 v8, 0, 1, vcc_lo
	v_cmp_eq_u32_e32 vcc_lo, 0x40f, v19
	v_add_nc_u32_e32 v19, 0xfffffc10, v26
	v_and_b32_e32 v2, 0xffff, v2
	v_lshrrev_b32_e32 v12, 16, v12
	v_and_or_b32 v8, 0xffe, v27, v8
	s_wait_alu 0xfffd
	v_cndmask_b32_e32 v1, v20, v4, vcc_lo
	v_cmp_ne_u32_e32 vcc_lo, v18, v22
	v_sub_nc_u32_e32 v4, 0x3f1, v28
	v_lshl_or_b32 v22, v19, 12, v17
	v_or_b32_e32 v20, 0x1000, v8
	v_and_or_b32 v1, 0x8000, v5, v1
	s_wait_alu 0xfffd
	v_cndmask_b32_e64 v18, 0, 1, vcc_lo
	v_med3_i32 v4, v4, 0, 13
	v_cmp_gt_i32_e32 vcc_lo, 1, v19
	v_lshrrev_b32_e32 v9, 16, v9
	v_lshl_or_b32 v1, v1, 16, v2
	v_or_b32_e32 v18, v25, v18
	s_wait_dscnt 0x0
	v_lshrrev_b32_e32 v25, 16, v3
	v_lshrrev_b32_e32 v26, v4, v20
	s_wait_alu 0xfffd
	v_cndmask_b32_e32 v18, v22, v18, vcc_lo
	s_delay_alu instid0(VALU_DEP_3) | instskip(NEXT) | instid1(VALU_DEP_3)
	v_mul_f16_e32 v22, v56, v25
	v_lshlrev_b32_e32 v4, v4, v26
	s_delay_alu instid0(VALU_DEP_3) | instskip(NEXT) | instid1(VALU_DEP_3)
	v_and_b32_e32 v5, 7, v18
	v_fmac_f16_e32 v22, v54, v3
	s_delay_alu instid0(VALU_DEP_3)
	v_cmp_ne_u32_e64 s0, v4, v20
	v_add_nc_u32_e32 v20, 0xfffffc10, v28
	v_mul_f16_e32 v3, v56, v3
	v_cmp_lt_i32_e32 vcc_lo, 5, v5
	v_cvt_f32_f16_e32 v2, v22
	s_wait_alu 0xf1ff
	v_cndmask_b32_e64 v6, 0, 1, s0
	v_cmp_eq_u32_e64 s0, 3, v5
	v_lshl_or_b32 v21, v20, 12, v8
	v_fma_f16 v3, v54, v25, -v3
	v_cvt_f64_f32_e32 v[4:5], v2
	v_and_or_b32 v2, 0x1ff, v14, v13
	v_lshrrev_b32_e32 v13, 2, v18
	s_or_b32 vcc_lo, s0, vcc_lo
	v_or_b32_e32 v18, v26, v6
	v_mul_f64_e32 v[6:7], s[8:9], v[15:16]
	v_cmp_ne_u32_e64 s1, 0, v2
	s_wait_alu 0xfffe
	v_add_co_ci_u32_e32 v13, vcc_lo, 0, v13, vcc_lo
	v_cmp_gt_i32_e32 vcc_lo, 1, v20
	v_lshrrev_b32_e32 v15, 8, v14
	s_wait_alu 0xf1ff
	v_cndmask_b32_e64 v2, 0, 1, s1
	v_bfe_u32 v16, v14, 20, 11
	v_cmp_eq_u32_e64 s1, 0x40f, v19
	s_wait_alu 0xfffd
	v_cndmask_b32_e32 v18, v21, v18, vcc_lo
	v_cmp_ne_u32_e32 vcc_lo, 0, v17
	v_and_or_b32 v15, 0xffe, v15, v2
	v_sub_nc_u32_e32 v2, 0x3f1, v16
	v_add_nc_u32_e32 v16, 0xfffffc10, v16
	v_and_b32_e32 v21, 7, v18
	s_wait_alu 0xfffd
	v_cndmask_b32_e64 v17, 0, 1, vcc_lo
	v_cmp_gt_i32_e32 vcc_lo, 31, v19
	v_or_b32_e32 v22, 0x1000, v15
	v_med3_i32 v2, v2, 0, 13
	v_cmp_eq_u32_e64 s0, 3, v21
	v_lshl_or_b32 v17, v17, 9, 0x7c00
	s_wait_alu 0xfffd
	v_cndmask_b32_e32 v13, 0x7c00, v13, vcc_lo
	v_cmp_lt_i32_e32 vcc_lo, 5, v21
	v_lshrrev_b32_e32 v18, 2, v18
	v_lshrrev_b32_e32 v23, v2, v22
	v_cvt_f32_f16_e32 v3, v3
	s_wait_alu 0xf1ff
	v_cndmask_b32_e64 v13, v13, v17, s1
	s_or_b32 vcc_lo, s0, vcc_lo
	v_lshrrev_b32_e32 v21, 16, v0
	s_wait_alu 0xfffe
	v_add_co_ci_u32_e32 v17, vcc_lo, 0, v18, vcc_lo
	v_lshlrev_b32_e32 v2, v2, v23
	v_cmp_ne_u32_e32 vcc_lo, 0, v8
	v_mul_f64_e32 v[4:5], s[8:9], v[4:5]
	v_lshl_or_b32 v18, v16, 12, v15
	v_and_or_b32 v19, 0x8000, v12, v13
	s_wait_alu 0xfffd
	v_cndmask_b32_e64 v8, 0, 1, vcc_lo
	v_cmp_ne_u32_e32 vcc_lo, v2, v22
	v_and_or_b32 v6, 0x1ff, v7, v6
	v_lshrrev_b32_e32 v13, 8, v7
	v_and_b32_e32 v19, 0xffff, v19
	v_lshl_or_b32 v8, v8, 9, 0x7c00
	s_wait_alu 0xfffd
	v_cndmask_b32_e64 v2, 0, 1, vcc_lo
	v_cmp_gt_i32_e32 vcc_lo, 31, v20
	s_delay_alu instid0(VALU_DEP_2)
	v_or_b32_e32 v2, v23, v2
	s_wait_alu 0xfffd
	v_cndmask_b32_e32 v17, 0x7c00, v17, vcc_lo
	v_cmp_gt_i32_e32 vcc_lo, 1, v16
	s_wait_alu 0xfffd
	v_cndmask_b32_e32 v12, v18, v2, vcc_lo
	v_cmp_ne_u32_e32 vcc_lo, 0, v6
	v_cvt_f64_f32_e32 v[2:3], v3
	v_bfe_u32 v18, v7, 20, 11
	v_lshrrev_b32_e32 v7, 16, v7
	s_wait_alu 0xfffd
	v_cndmask_b32_e64 v6, 0, 1, vcc_lo
	v_cmp_eq_u32_e32 vcc_lo, 0x40f, v20
	v_mul_f16_e32 v20, v55, v21
	s_delay_alu instid0(VALU_DEP_3)
	v_and_or_b32 v6, 0xffe, v13, v6
	s_wait_alu 0xfffd
	v_cndmask_b32_e32 v8, v17, v8, vcc_lo
	v_and_b32_e32 v17, 7, v12
	v_sub_nc_u32_e32 v13, 0x3f1, v18
	v_fmac_f16_e32 v20, v53, v0
	v_or_b32_e32 v22, 0x1000, v6
	v_and_or_b32 v4, 0x1ff, v5, v4
	v_cmp_lt_i32_e32 vcc_lo, 5, v17
	v_cmp_eq_u32_e64 s0, 3, v17
	v_and_or_b32 v17, 0x8000, v9, v8
	v_lshrrev_b32_e32 v8, 2, v12
	v_med3_i32 v13, v13, 0, 13
	v_cvt_f32_f16_e32 v9, v20
	s_or_b32 vcc_lo, s0, vcc_lo
	v_mul_f16_e32 v0, v55, v0
	s_wait_alu 0xfffe
	v_add_co_ci_u32_e32 v20, vcc_lo, 0, v8, vcc_lo
	v_lshrrev_b32_e32 v12, v13, v22
	v_cvt_f64_f32_e32 v[8:9], v9
	v_cmp_ne_u32_e32 vcc_lo, 0, v15
	v_fma_f16 v0, v53, v21, -v0
	v_lshrrev_b32_e32 v23, 8, v5
	v_lshlrev_b32_e32 v13, v13, v12
	v_add_nc_u32_e32 v18, 0xfffffc10, v18
	s_wait_alu 0xfffd
	v_cndmask_b32_e64 v15, 0, 1, vcc_lo
	v_cmp_ne_u32_e32 vcc_lo, 0, v4
	v_cvt_f32_f16_e32 v0, v0
	v_bfe_u32 v21, v5, 20, 11
	v_lshl_or_b32 v24, v18, 12, v6
	v_mul_f64_e32 v[2:3], s[8:9], v[2:3]
	s_wait_alu 0xfffd
	v_cndmask_b32_e64 v4, 0, 1, vcc_lo
	v_cmp_ne_u32_e32 vcc_lo, v13, v22
	v_sub_nc_u32_e32 v22, 0x3f1, v21
	v_lshl_or_b32 v15, v15, 9, 0x7c00
	v_lshl_or_b32 v17, v17, 16, v19
	v_and_or_b32 v4, 0xffe, v23, v4
	s_wait_alu 0xfffd
	v_cndmask_b32_e64 v13, 0, 1, vcc_lo
	v_cmp_gt_i32_e32 vcc_lo, 31, v16
	v_med3_i32 v22, v22, 0, 13
	v_lshrrev_b32_e32 v19, 16, v14
	v_lshrrev_b32_e32 v5, 16, v5
	v_or_b32_e32 v23, v12, v13
	v_cvt_f64_f32_e32 v[12:13], v0
	s_wait_alu 0xfffd
	v_cndmask_b32_e32 v20, 0x7c00, v20, vcc_lo
	v_cmp_gt_i32_e32 vcc_lo, 1, v18
	v_or_b32_e32 v0, 0x1000, v4
	s_wait_alu 0xfffd
	v_cndmask_b32_e32 v23, v24, v23, vcc_lo
	v_add_co_u32 v10, vcc_lo, v10, s2
	s_wait_alu 0xfffd
	v_add_co_ci_u32_e32 v11, vcc_lo, s3, v11, vcc_lo
	s_delay_alu instid0(VALU_DEP_3)
	v_and_b32_e32 v24, 7, v23
	v_cmp_eq_u32_e32 vcc_lo, 0x40f, v16
	v_lshrrev_b32_e32 v25, v22, v0
	v_lshrrev_b32_e32 v14, 2, v23
	v_mul_f64_e32 v[8:9], s[8:9], v[8:9]
	v_cmp_eq_u32_e64 s0, 3, v24
	s_wait_alu 0xfffd
	v_cndmask_b32_e32 v16, v20, v15, vcc_lo
	v_cmp_lt_i32_e32 vcc_lo, 5, v24
	v_lshlrev_b32_e32 v22, v22, v25
	v_add_nc_u32_e32 v20, 0xfffffc10, v21
	s_delay_alu instid0(VALU_DEP_4) | instskip(SKIP_1) | instid1(VALU_DEP_3)
	v_and_or_b32 v16, 0x8000, v19, v16
	s_or_b32 vcc_lo, s0, vcc_lo
	v_cmp_ne_u32_e64 s1, v22, v0
	s_wait_alu 0xfffe
	v_add_co_ci_u32_e32 v14, vcc_lo, 0, v14, vcc_lo
	v_cmp_ne_u32_e32 vcc_lo, 0, v6
	v_lshl_or_b32 v21, v20, 12, v4
	s_wait_alu 0xf1ff
	v_cndmask_b32_e64 v0, 0, 1, s1
	v_and_or_b32 v2, 0x1ff, v3, v2
	v_bfe_u32 v23, v3, 20, 11
	s_wait_alu 0xfffd
	v_cndmask_b32_e64 v6, 0, 1, vcc_lo
	v_cmp_gt_i32_e32 vcc_lo, 31, v18
	v_or_b32_e32 v0, v25, v0
	v_and_b32_e32 v16, 0xffff, v16
	v_mul_f64_e32 v[12:13], s[8:9], v[12:13]
	s_wait_alu 0xfffd
	v_cndmask_b32_e32 v22, 0x7c00, v14, vcc_lo
	v_add_co_u32 v14, vcc_lo, v10, s4
	s_wait_alu 0xfffd
	v_add_co_ci_u32_e32 v15, vcc_lo, s5, v11, vcc_lo
	v_cmp_gt_i32_e32 vcc_lo, 1, v20
	v_lshl_or_b32 v6, v6, 9, 0x7c00
	s_wait_alu 0xfffd
	v_cndmask_b32_e32 v0, v21, v0, vcc_lo
	v_cmp_ne_u32_e32 vcc_lo, 0, v2
	v_lshrrev_b32_e32 v21, 8, v3
	v_lshrrev_b32_e32 v3, 16, v3
	v_and_or_b32 v8, 0x1ff, v9, v8
	s_wait_alu 0xfffd
	v_cndmask_b32_e64 v2, 0, 1, vcc_lo
	v_cmp_eq_u32_e32 vcc_lo, 0x40f, v18
	v_and_b32_e32 v18, 7, v0
	v_lshrrev_b32_e32 v0, 2, v0
	s_delay_alu instid0(VALU_DEP_4)
	v_and_or_b32 v2, 0xffe, v21, v2
	s_wait_alu 0xfffd
	v_cndmask_b32_e32 v6, v22, v6, vcc_lo
	v_sub_nc_u32_e32 v21, 0x3f1, v23
	v_cmp_lt_i32_e32 vcc_lo, 5, v18
	v_cmp_eq_u32_e64 s0, 3, v18
	v_bfe_u32 v22, v9, 20, 11
	v_and_or_b32 v6, 0x8000, v7, v6
	v_or_b32_e32 v7, 0x1000, v2
	v_med3_i32 v19, v21, 0, 13
	s_or_b32 vcc_lo, s0, vcc_lo
	v_lshrrev_b32_e32 v21, 8, v9
	s_wait_alu 0xfffe
	v_add_co_ci_u32_e32 v0, vcc_lo, 0, v0, vcc_lo
	v_lshrrev_b32_e32 v18, v19, v7
	v_cmp_ne_u32_e32 vcc_lo, 0, v8
	v_and_or_b32 v12, 0x1ff, v13, v12
	v_lshrrev_b32_e32 v24, 8, v13
	s_delay_alu instid0(VALU_DEP_4) | instskip(SKIP_4) | instid1(VALU_DEP_3)
	v_lshlrev_b32_e32 v19, v19, v18
	s_wait_alu 0xfffd
	v_cndmask_b32_e64 v8, 0, 1, vcc_lo
	v_cmp_ne_u32_e32 vcc_lo, 0, v4
	v_bfe_u32 v25, v13, 20, 11
	v_and_or_b32 v8, 0xffe, v21, v8
	s_wait_alu 0xfffd
	v_cndmask_b32_e64 v4, 0, 1, vcc_lo
	v_cmp_ne_u32_e32 vcc_lo, v19, v7
	v_sub_nc_u32_e32 v21, 0x3f1, v22
	v_add_nc_u32_e32 v19, 0xfffffc10, v23
	v_or_b32_e32 v23, 0x1000, v8
	v_lshl_or_b32 v4, v4, 9, 0x7c00
	s_wait_alu 0xfffd
	v_cndmask_b32_e64 v7, 0, 1, vcc_lo
	v_cmp_gt_i32_e32 vcc_lo, 31, v20
	v_med3_i32 v21, v21, 0, 13
	s_delay_alu instid0(VALU_DEP_3)
	v_or_b32_e32 v7, v18, v7
	s_wait_alu 0xfffd
	v_cndmask_b32_e32 v0, 0x7c00, v0, vcc_lo
	v_cmp_ne_u32_e32 vcc_lo, 0, v12
	v_lshl_or_b32 v18, v19, 12, v2
	v_lshrrev_b32_e32 v26, v21, v23
	s_wait_alu 0xfffd
	v_cndmask_b32_e64 v12, 0, 1, vcc_lo
	v_cmp_gt_i32_e32 vcc_lo, 1, v19
	s_delay_alu instid0(VALU_DEP_2)
	v_and_or_b32 v12, 0xffe, v24, v12
	v_sub_nc_u32_e32 v24, 0x3f1, v25
	s_wait_alu 0xfffd
	v_dual_cndmask_b32 v7, v18, v7 :: v_dual_lshlrev_b32 v18, v21, v26
	v_cmp_eq_u32_e32 vcc_lo, 0x40f, v20
	v_or_b32_e32 v21, 0x1000, v12
	v_med3_i32 v24, v24, 0, 13
	s_delay_alu instid0(VALU_DEP_4)
	v_and_b32_e32 v27, 7, v7
	v_lshrrev_b32_e32 v7, 2, v7
	s_wait_alu 0xfffd
	v_cndmask_b32_e32 v0, v0, v4, vcc_lo
	v_cmp_ne_u32_e32 vcc_lo, v18, v23
	v_add_nc_u32_e32 v18, 0xfffffc10, v22
	v_lshrrev_b32_e32 v20, v24, v21
	v_cmp_eq_u32_e64 s0, 3, v27
	v_and_or_b32 v0, 0x8000, v5, v0
	s_wait_alu 0xfffd
	v_cndmask_b32_e64 v4, 0, 1, vcc_lo
	v_lshl_or_b32 v22, v18, 12, v8
	v_lshlrev_b32_e32 v23, v24, v20
	v_cmp_gt_i32_e64 s1, 1, v18
	v_cmp_lt_i32_e32 vcc_lo, 5, v27
	v_or_b32_e32 v4, v26, v4
	v_and_b32_e32 v0, 0xffff, v0
	s_or_b32 vcc_lo, s0, vcc_lo
	s_delay_alu instid0(VALU_DEP_2)
	v_cndmask_b32_e64 v4, v22, v4, s1
	v_cmp_ne_u32_e64 s1, v23, v21
	v_add_nc_u32_e32 v22, 0xfffffc10, v25
	s_wait_alu 0xfffe
	v_add_co_ci_u32_e32 v7, vcc_lo, 0, v7, vcc_lo
	v_and_b32_e32 v23, 7, v4
	s_wait_alu 0xf1ff
	v_cndmask_b32_e64 v21, 0, 1, s1
	v_cmp_ne_u32_e32 vcc_lo, 0, v2
	v_cmp_gt_i32_e64 s0, 1, v22
	v_lshrrev_b32_e32 v4, 2, v4
	v_cmp_gt_i32_e64 s1, 31, v19
	v_or_b32_e32 v20, v20, v21
	v_lshl_or_b32 v21, v22, 12, v12
	s_wait_alu 0xfffd
	v_cndmask_b32_e64 v2, 0, 1, vcc_lo
	v_cmp_lt_i32_e32 vcc_lo, 5, v23
	s_wait_alu 0xf1ff
	v_cndmask_b32_e64 v7, 0x7c00, v7, s1
	v_cmp_eq_u32_e64 s1, 0x40f, v19
	v_cndmask_b32_e64 v5, v21, v20, s0
	v_cmp_eq_u32_e64 s0, 3, v23
	v_lshl_or_b32 v2, v2, 9, 0x7c00
	s_delay_alu instid0(VALU_DEP_3) | instskip(NEXT) | instid1(VALU_DEP_3)
	v_and_b32_e32 v20, 7, v5
	s_or_b32 vcc_lo, s0, vcc_lo
	v_lshrrev_b32_e32 v5, 2, v5
	s_wait_alu 0xfffe
	v_add_co_ci_u32_e32 v4, vcc_lo, 0, v4, vcc_lo
	v_cmp_ne_u32_e32 vcc_lo, 0, v8
	v_cmp_eq_u32_e64 s0, 3, v20
	v_cndmask_b32_e64 v2, v7, v2, s1
	v_cmp_gt_i32_e64 s1, 31, v18
	s_wait_alu 0xfffd
	v_cndmask_b32_e64 v8, 0, 1, vcc_lo
	v_cmp_lt_i32_e32 vcc_lo, 5, v20
	s_wait_alu 0xf1ff
	v_cndmask_b32_e64 v4, 0x7c00, v4, s1
	s_delay_alu instid0(VALU_DEP_3)
	v_lshl_or_b32 v7, v8, 9, 0x7c00
	s_or_b32 vcc_lo, s0, vcc_lo
	s_wait_alu 0xfffe
	v_add_co_ci_u32_e32 v5, vcc_lo, 0, v5, vcc_lo
	v_cmp_ne_u32_e32 vcc_lo, 0, v12
	s_wait_alu 0xfffd
	v_cndmask_b32_e64 v8, 0, 1, vcc_lo
	v_cmp_eq_u32_e32 vcc_lo, 0x40f, v18
	s_delay_alu instid0(VALU_DEP_2)
	v_lshl_or_b32 v8, v8, 9, 0x7c00
	s_wait_alu 0xfffd
	v_cndmask_b32_e32 v4, v4, v7, vcc_lo
	v_cmp_gt_i32_e32 vcc_lo, 31, v22
	v_lshrrev_b32_e32 v7, 16, v9
	v_lshl_or_b32 v9, v6, 16, v16
	v_and_or_b32 v6, 0x8000, v3, v2
	s_wait_alu 0xfffd
	v_cndmask_b32_e32 v5, 0x7c00, v5, vcc_lo
	v_cmp_eq_u32_e32 vcc_lo, 0x40f, v22
	v_and_or_b32 v4, 0x8000, v7, v4
	v_lshrrev_b32_e32 v7, 16, v13
	v_lshl_or_b32 v0, v6, 16, v0
	s_wait_alu 0xfffd
	v_cndmask_b32_e32 v5, v5, v8, vcc_lo
	v_add_co_u32 v2, vcc_lo, v14, s2
	s_wait_alu 0xfffd
	v_add_co_ci_u32_e32 v3, vcc_lo, s3, v15, vcc_lo
	s_delay_alu instid0(VALU_DEP_3) | instskip(SKIP_4) | instid1(VALU_DEP_3)
	v_and_or_b32 v6, 0x8000, v7, v5
	v_and_b32_e32 v7, 0xffff, v4
	v_add_co_u32 v4, vcc_lo, v2, s2
	s_wait_alu 0xfffd
	v_add_co_ci_u32_e32 v5, vcc_lo, s3, v3, vcc_lo
	v_lshl_or_b32 v8, v6, 16, v7
	s_delay_alu instid0(VALU_DEP_3) | instskip(SKIP_1) | instid1(VALU_DEP_3)
	v_add_co_u32 v6, vcc_lo, v4, s2
	s_wait_alu 0xfffd
	v_add_co_ci_u32_e32 v7, vcc_lo, s3, v5, vcc_lo
	global_store_b32 v[10:11], v1, off
	global_store_b32 v[14:15], v17, off
	;; [unrolled: 1-line block ×5, first 2 shown]
.LBB0_2:
	s_nop 0
	s_sendmsg sendmsg(MSG_DEALLOC_VGPRS)
	s_endpgm
	.section	.rodata,"a",@progbits
	.p2align	6, 0x0
	.amdhsa_kernel bluestein_single_fwd_len10000_dim1_half_op_CI_CI
		.amdhsa_group_segment_fixed_size 40000
		.amdhsa_private_segment_fixed_size 0
		.amdhsa_kernarg_size 104
		.amdhsa_user_sgpr_count 2
		.amdhsa_user_sgpr_dispatch_ptr 0
		.amdhsa_user_sgpr_queue_ptr 0
		.amdhsa_user_sgpr_kernarg_segment_ptr 1
		.amdhsa_user_sgpr_dispatch_id 0
		.amdhsa_user_sgpr_private_segment_size 0
		.amdhsa_wavefront_size32 1
		.amdhsa_uses_dynamic_stack 0
		.amdhsa_enable_private_segment 0
		.amdhsa_system_sgpr_workgroup_id_x 1
		.amdhsa_system_sgpr_workgroup_id_y 0
		.amdhsa_system_sgpr_workgroup_id_z 0
		.amdhsa_system_sgpr_workgroup_info 0
		.amdhsa_system_vgpr_workitem_id 0
		.amdhsa_next_free_vgpr 236
		.amdhsa_next_free_sgpr 20
		.amdhsa_reserve_vcc 1
		.amdhsa_float_round_mode_32 0
		.amdhsa_float_round_mode_16_64 0
		.amdhsa_float_denorm_mode_32 3
		.amdhsa_float_denorm_mode_16_64 3
		.amdhsa_fp16_overflow 0
		.amdhsa_workgroup_processor_mode 1
		.amdhsa_memory_ordered 1
		.amdhsa_forward_progress 0
		.amdhsa_round_robin_scheduling 0
		.amdhsa_exception_fp_ieee_invalid_op 0
		.amdhsa_exception_fp_denorm_src 0
		.amdhsa_exception_fp_ieee_div_zero 0
		.amdhsa_exception_fp_ieee_overflow 0
		.amdhsa_exception_fp_ieee_underflow 0
		.amdhsa_exception_fp_ieee_inexact 0
		.amdhsa_exception_int_div_zero 0
	.end_amdhsa_kernel
	.text
.Lfunc_end0:
	.size	bluestein_single_fwd_len10000_dim1_half_op_CI_CI, .Lfunc_end0-bluestein_single_fwd_len10000_dim1_half_op_CI_CI
                                        ; -- End function
	.section	.AMDGPU.csdata,"",@progbits
; Kernel info:
; codeLenInByte = 44684
; NumSgprs: 22
; NumVgprs: 236
; ScratchSize: 0
; MemoryBound: 0
; FloatMode: 240
; IeeeMode: 1
; LDSByteSize: 40000 bytes/workgroup (compile time only)
; SGPRBlocks: 2
; VGPRBlocks: 29
; NumSGPRsForWavesPerEU: 22
; NumVGPRsForWavesPerEU: 236
; Occupancy: 6
; WaveLimiterHint : 1
; COMPUTE_PGM_RSRC2:SCRATCH_EN: 0
; COMPUTE_PGM_RSRC2:USER_SGPR: 2
; COMPUTE_PGM_RSRC2:TRAP_HANDLER: 0
; COMPUTE_PGM_RSRC2:TGID_X_EN: 1
; COMPUTE_PGM_RSRC2:TGID_Y_EN: 0
; COMPUTE_PGM_RSRC2:TGID_Z_EN: 0
; COMPUTE_PGM_RSRC2:TIDIG_COMP_CNT: 0
	.text
	.p2alignl 7, 3214868480
	.fill 96, 4, 3214868480
	.type	__hip_cuid_df2557ad15e2b8a4,@object ; @__hip_cuid_df2557ad15e2b8a4
	.section	.bss,"aw",@nobits
	.globl	__hip_cuid_df2557ad15e2b8a4
__hip_cuid_df2557ad15e2b8a4:
	.byte	0                               ; 0x0
	.size	__hip_cuid_df2557ad15e2b8a4, 1

	.ident	"AMD clang version 19.0.0git (https://github.com/RadeonOpenCompute/llvm-project roc-6.4.0 25133 c7fe45cf4b819c5991fe208aaa96edf142730f1d)"
	.section	".note.GNU-stack","",@progbits
	.addrsig
	.addrsig_sym __hip_cuid_df2557ad15e2b8a4
	.amdgpu_metadata
---
amdhsa.kernels:
  - .args:
      - .actual_access:  read_only
        .address_space:  global
        .offset:         0
        .size:           8
        .value_kind:     global_buffer
      - .actual_access:  read_only
        .address_space:  global
        .offset:         8
        .size:           8
        .value_kind:     global_buffer
      - .actual_access:  read_only
        .address_space:  global
        .offset:         16
        .size:           8
        .value_kind:     global_buffer
      - .actual_access:  read_only
        .address_space:  global
        .offset:         24
        .size:           8
        .value_kind:     global_buffer
      - .actual_access:  read_only
        .address_space:  global
        .offset:         32
        .size:           8
        .value_kind:     global_buffer
      - .offset:         40
        .size:           8
        .value_kind:     by_value
      - .address_space:  global
        .offset:         48
        .size:           8
        .value_kind:     global_buffer
      - .address_space:  global
        .offset:         56
        .size:           8
        .value_kind:     global_buffer
      - .address_space:  global
        .offset:         64
        .size:           8
        .value_kind:     global_buffer
      - .address_space:  global
        .offset:         72
        .size:           8
        .value_kind:     global_buffer
      - .offset:         80
        .size:           4
        .value_kind:     by_value
      - .address_space:  global
        .offset:         88
        .size:           8
        .value_kind:     global_buffer
      - .address_space:  global
        .offset:         96
        .size:           8
        .value_kind:     global_buffer
    .group_segment_fixed_size: 40000
    .kernarg_segment_align: 8
    .kernarg_segment_size: 104
    .language:       OpenCL C
    .language_version:
      - 2
      - 0
    .max_flat_workgroup_size: 500
    .name:           bluestein_single_fwd_len10000_dim1_half_op_CI_CI
    .private_segment_fixed_size: 0
    .sgpr_count:     22
    .sgpr_spill_count: 0
    .symbol:         bluestein_single_fwd_len10000_dim1_half_op_CI_CI.kd
    .uniform_work_group_size: 1
    .uses_dynamic_stack: false
    .vgpr_count:     236
    .vgpr_spill_count: 0
    .wavefront_size: 32
    .workgroup_processor_mode: 1
amdhsa.target:   amdgcn-amd-amdhsa--gfx1201
amdhsa.version:
  - 1
  - 2
...

	.end_amdgpu_metadata
